;; amdgpu-corpus repo=ROCm/rocFFT kind=compiled arch=gfx950 opt=O3
	.text
	.amdgcn_target "amdgcn-amd-amdhsa--gfx950"
	.amdhsa_code_object_version 6
	.protected	fft_rtc_back_len169_factors_13_13_wgs_156_tpt_13_dp_ip_CI_sbcc_twdbase8_2step_dirReg ; -- Begin function fft_rtc_back_len169_factors_13_13_wgs_156_tpt_13_dp_ip_CI_sbcc_twdbase8_2step_dirReg
	.globl	fft_rtc_back_len169_factors_13_13_wgs_156_tpt_13_dp_ip_CI_sbcc_twdbase8_2step_dirReg
	.p2align	8
	.type	fft_rtc_back_len169_factors_13_13_wgs_156_tpt_13_dp_ip_CI_sbcc_twdbase8_2step_dirReg,@function
fft_rtc_back_len169_factors_13_13_wgs_156_tpt_13_dp_ip_CI_sbcc_twdbase8_2step_dirReg: ; @fft_rtc_back_len169_factors_13_13_wgs_156_tpt_13_dp_ip_CI_sbcc_twdbase8_2step_dirReg
; %bb.0:
	s_load_dwordx4 s[12:15], s[0:1], 0x18
	v_mov_b32_e32 v124, v0
	s_mov_b32 s3, 0
	s_mov_b64 s[26:27], 0
	s_waitcnt lgkmcnt(0)
	s_load_dwordx2 s[18:19], s[12:13], 0x8
	s_waitcnt lgkmcnt(0)
	s_add_u32 s4, s18, -1
	s_addc_u32 s5, s19, -1
	s_add_u32 s6, 0, 0x55540000
	s_addc_u32 s7, 0, 0x55
	s_mul_hi_u32 s9, s6, -12
	s_add_i32 s7, s7, 0x15555500
	s_sub_i32 s9, s9, s6
	s_mul_i32 s16, s7, -12
	s_mul_i32 s8, s6, -12
	s_add_i32 s9, s9, s16
	s_mul_hi_u32 s10, s7, s8
	s_mul_i32 s11, s7, s8
	s_mul_i32 s17, s6, s9
	s_mul_hi_u32 s8, s6, s8
	s_mul_hi_u32 s16, s6, s9
	s_add_u32 s8, s8, s17
	s_addc_u32 s16, 0, s16
	s_add_u32 s8, s8, s11
	s_mul_hi_u32 s17, s7, s9
	s_addc_u32 s8, s16, s10
	s_addc_u32 s10, s17, 0
	s_mul_i32 s9, s7, s9
	s_add_u32 s8, s8, s9
	v_mov_b32_e32 v0, s8
	s_addc_u32 s9, 0, s10
	v_add_co_u32_e32 v0, vcc, s6, v0
	s_cmp_lg_u64 vcc, 0
	s_addc_u32 s6, s7, s9
	v_readfirstlane_b32 s9, v0
	s_mul_i32 s8, s4, s6
	s_mul_hi_u32 s10, s4, s9
	s_mul_hi_u32 s7, s4, s6
	s_add_u32 s8, s10, s8
	s_addc_u32 s7, 0, s7
	s_mul_hi_u32 s11, s5, s9
	s_mul_i32 s9, s5, s9
	s_add_u32 s8, s8, s9
	s_mul_hi_u32 s10, s5, s6
	s_addc_u32 s7, s7, s11
	s_addc_u32 s8, s10, 0
	s_mul_i32 s6, s5, s6
	s_add_u32 s6, s7, s6
	s_addc_u32 s7, 0, s8
	s_add_u32 s8, s6, 1
	s_addc_u32 s9, s7, 0
	s_add_u32 s10, s6, 2
	s_mul_i32 s16, s7, 12
	s_mul_hi_u32 s17, s6, 12
	s_addc_u32 s11, s7, 0
	s_add_i32 s17, s17, s16
	s_mul_i32 s16, s6, 12
	v_mov_b32_e32 v0, s16
	v_sub_co_u32_e32 v0, vcc, s4, v0
	s_cmp_lg_u64 vcc, 0
	s_subb_u32 s4, s5, s17
	v_subrev_co_u32_e32 v1, vcc, 12, v0
	s_cmp_lg_u64 vcc, 0
	s_subb_u32 s5, s4, 0
	v_readfirstlane_b32 s16, v1
	s_cmp_gt_u32 s16, 11
	s_cselect_b32 s16, -1, 0
	s_cmp_eq_u32 s5, 0
	s_cselect_b32 s5, s16, -1
	s_cmp_lg_u32 s5, 0
	s_cselect_b32 s5, s10, s8
	s_cselect_b32 s8, s11, s9
	v_readfirstlane_b32 s9, v0
	s_cmp_gt_u32 s9, 11
	s_cselect_b32 s9, -1, 0
	s_cmp_eq_u32 s4, 0
	s_cselect_b32 s4, s9, -1
	s_cmp_lg_u32 s4, 0
	s_cselect_b32 s5, s5, s6
	s_cselect_b32 s4, s8, s7
	s_add_u32 s20, s5, 1
	s_addc_u32 s21, s4, 0
	v_mov_b64_e32 v[2:3], s[20:21]
	v_cmp_lt_u64_e32 vcc, s[2:3], v[2:3]
	s_cbranch_vccnz .LBB0_2
; %bb.1:
	v_cvt_f32_u32_e32 v0, s20
	s_sub_i32 s4, 0, s20
	s_mov_b32 s27, s3
	v_rcp_iflag_f32_e32 v0, v0
	s_nop 0
	v_mul_f32_e32 v0, 0x4f7ffffe, v0
	v_cvt_u32_f32_e32 v0, v0
	s_nop 0
	v_readfirstlane_b32 s5, v0
	s_mul_i32 s4, s4, s5
	s_mul_hi_u32 s4, s5, s4
	s_add_i32 s5, s5, s4
	s_mul_hi_u32 s4, s2, s5
	s_mul_i32 s6, s4, s20
	s_sub_i32 s6, s2, s6
	s_add_i32 s5, s4, 1
	s_sub_i32 s7, s6, s20
	s_cmp_ge_u32 s6, s20
	s_cselect_b32 s4, s5, s4
	s_cselect_b32 s6, s7, s6
	s_add_i32 s5, s4, 1
	s_cmp_ge_u32 s6, s20
	s_cselect_b32 s26, s5, s4
.LBB0_2:
	s_load_dwordx2 s[16:17], s[0:1], 0x58
	s_load_dwordx4 s[4:7], s[14:15], 0x0
	s_load_dwordx2 s[22:23], s[0:1], 0x0
	s_load_dwordx4 s[8:11], s[0:1], 0x8
	s_mul_i32 s0, s26, s21
	s_mul_hi_u32 s1, s26, s20
	s_add_i32 s1, s1, s0
	s_mul_i32 s0, s26, s20
	s_sub_u32 s0, s2, s0
	s_subb_u32 s1, 0, s1
	s_mul_i32 s1, s1, 12
	s_mul_hi_u32 s24, s0, 12
	s_add_i32 s25, s24, s1
	s_mul_i32 s24, s0, 12
	s_waitcnt lgkmcnt(0)
	s_mul_i32 s0, s6, s25
	s_mul_hi_u32 s1, s6, s24
	s_add_i32 s0, s1, s0
	s_mul_i32 s1, s7, s24
	s_add_i32 s33, s0, s1
	v_cmp_lt_u64_e64 s[0:1], s[10:11], 3
	s_mul_i32 s40, s6, s24
	s_and_b64 vcc, exec, s[0:1]
	s_cbranch_vccnz .LBB0_12
; %bb.3:
	s_add_u32 s28, s14, 16
	s_addc_u32 s29, s15, 0
	s_add_u32 s12, s12, 16
	s_addc_u32 s13, s13, 0
	s_mov_b64 s[30:31], 2
	s_mov_b32 s34, 0
	v_mov_b64_e32 v[2:3], s[10:11]
.LBB0_4:                                ; =>This Inner Loop Header: Depth=1
	s_load_dwordx2 s[36:37], s[12:13], 0x0
	s_waitcnt lgkmcnt(0)
	s_or_b64 s[0:1], s[26:27], s[36:37]
	s_mov_b32 s35, s1
	s_cmp_lg_u64 s[34:35], 0
	s_cbranch_scc0 .LBB0_9
; %bb.5:                                ;   in Loop: Header=BB0_4 Depth=1
	v_cvt_f32_u32_e32 v0, s36
	v_cvt_f32_u32_e32 v1, s37
	s_sub_u32 s0, 0, s36
	s_subb_u32 s1, 0, s37
	v_fmac_f32_e32 v0, 0x4f800000, v1
	v_rcp_f32_e32 v0, v0
	s_nop 0
	v_mul_f32_e32 v0, 0x5f7ffffc, v0
	v_mul_f32_e32 v1, 0x2f800000, v0
	v_trunc_f32_e32 v1, v1
	v_fmac_f32_e32 v0, 0xcf800000, v1
	v_cvt_u32_f32_e32 v1, v1
	v_cvt_u32_f32_e32 v0, v0
	v_readfirstlane_b32 s35, v1
	v_readfirstlane_b32 s38, v0
	s_mul_i32 s39, s0, s35
	s_mul_hi_u32 s42, s0, s38
	s_mul_i32 s41, s1, s38
	s_add_i32 s39, s42, s39
	s_mul_i32 s43, s0, s38
	s_add_i32 s39, s39, s41
	s_mul_hi_u32 s41, s38, s39
	s_mul_i32 s42, s38, s39
	s_mul_hi_u32 s38, s38, s43
	s_add_u32 s38, s38, s42
	s_addc_u32 s41, 0, s41
	s_mul_hi_u32 s44, s35, s43
	s_mul_i32 s43, s35, s43
	s_add_u32 s38, s38, s43
	s_mul_hi_u32 s42, s35, s39
	s_addc_u32 s38, s41, s44
	s_addc_u32 s41, s42, 0
	s_mul_i32 s39, s35, s39
	s_add_u32 s38, s38, s39
	s_addc_u32 s39, 0, s41
	v_add_co_u32_e32 v0, vcc, s38, v0
	s_cmp_lg_u64 vcc, 0
	s_addc_u32 s35, s35, s39
	v_readfirstlane_b32 s39, v0
	s_mul_i32 s38, s0, s35
	s_mul_hi_u32 s41, s0, s39
	s_add_i32 s38, s41, s38
	s_mul_i32 s1, s1, s39
	s_add_i32 s38, s38, s1
	s_mul_i32 s0, s0, s39
	s_mul_hi_u32 s41, s35, s0
	s_mul_i32 s42, s35, s0
	s_mul_i32 s44, s39, s38
	s_mul_hi_u32 s0, s39, s0
	s_mul_hi_u32 s43, s39, s38
	s_add_u32 s0, s0, s44
	s_addc_u32 s39, 0, s43
	s_add_u32 s0, s0, s42
	s_mul_hi_u32 s1, s35, s38
	s_addc_u32 s0, s39, s41
	s_addc_u32 s1, s1, 0
	s_mul_i32 s38, s35, s38
	s_add_u32 s0, s0, s38
	s_addc_u32 s1, 0, s1
	v_add_co_u32_e32 v0, vcc, s0, v0
	s_cmp_lg_u64 vcc, 0
	s_addc_u32 s0, s35, s1
	v_readfirstlane_b32 s38, v0
	s_mul_i32 s35, s26, s0
	s_mul_hi_u32 s39, s26, s38
	s_mul_hi_u32 s1, s26, s0
	s_add_u32 s35, s39, s35
	s_addc_u32 s1, 0, s1
	s_mul_hi_u32 s41, s27, s38
	s_mul_i32 s38, s27, s38
	s_add_u32 s35, s35, s38
	s_mul_hi_u32 s39, s27, s0
	s_addc_u32 s1, s1, s41
	s_addc_u32 s35, s39, 0
	s_mul_i32 s0, s27, s0
	s_add_u32 s38, s1, s0
	s_addc_u32 s35, 0, s35
	s_mul_i32 s0, s36, s35
	s_mul_hi_u32 s1, s36, s38
	s_add_i32 s0, s1, s0
	s_mul_i32 s1, s37, s38
	s_add_i32 s39, s0, s1
	s_mul_i32 s1, s36, s38
	v_mov_b32_e32 v0, s1
	s_sub_i32 s0, s27, s39
	v_sub_co_u32_e32 v0, vcc, s26, v0
	s_cmp_lg_u64 vcc, 0
	s_subb_u32 s41, s0, s37
	v_subrev_co_u32_e64 v1, s[0:1], s36, v0
	s_cmp_lg_u64 s[0:1], 0
	s_subb_u32 s0, s41, 0
	s_cmp_ge_u32 s0, s37
	v_readfirstlane_b32 s41, v1
	s_cselect_b32 s1, -1, 0
	s_cmp_ge_u32 s41, s36
	s_cselect_b32 s41, -1, 0
	s_cmp_eq_u32 s0, s37
	s_cselect_b32 s0, s41, s1
	s_add_u32 s1, s38, 1
	s_addc_u32 s41, s35, 0
	s_add_u32 s42, s38, 2
	s_addc_u32 s43, s35, 0
	s_cmp_lg_u32 s0, 0
	s_cselect_b32 s0, s42, s1
	s_cselect_b32 s1, s43, s41
	s_cmp_lg_u64 vcc, 0
	s_subb_u32 s39, s27, s39
	s_cmp_ge_u32 s39, s37
	v_readfirstlane_b32 s42, v0
	s_cselect_b32 s41, -1, 0
	s_cmp_ge_u32 s42, s36
	s_cselect_b32 s42, -1, 0
	s_cmp_eq_u32 s39, s37
	s_cselect_b32 s39, s42, s41
	s_cmp_lg_u32 s39, 0
	s_cselect_b32 s1, s1, s35
	s_cselect_b32 s0, s0, s38
	s_cbranch_execnz .LBB0_7
.LBB0_6:                                ;   in Loop: Header=BB0_4 Depth=1
	v_cvt_f32_u32_e32 v0, s36
	s_sub_i32 s0, 0, s36
	v_rcp_iflag_f32_e32 v0, v0
	s_nop 0
	v_mul_f32_e32 v0, 0x4f7ffffe, v0
	v_cvt_u32_f32_e32 v0, v0
	s_nop 0
	v_readfirstlane_b32 s1, v0
	s_mul_i32 s0, s0, s1
	s_mul_hi_u32 s0, s1, s0
	s_add_i32 s1, s1, s0
	s_mul_hi_u32 s0, s26, s1
	s_mul_i32 s35, s0, s36
	s_sub_i32 s35, s26, s35
	s_add_i32 s1, s0, 1
	s_sub_i32 s38, s35, s36
	s_cmp_ge_u32 s35, s36
	s_cselect_b32 s0, s1, s0
	s_cselect_b32 s35, s38, s35
	s_add_i32 s1, s0, 1
	s_cmp_ge_u32 s35, s36
	s_cselect_b32 s0, s1, s0
	s_mov_b32 s1, s34
.LBB0_7:                                ;   in Loop: Header=BB0_4 Depth=1
	s_mul_i32 s21, s36, s21
	s_mul_hi_u32 s35, s36, s20
	s_add_i32 s21, s35, s21
	s_mul_i32 s35, s37, s20
	s_add_i32 s21, s21, s35
	s_mul_i32 s35, s0, s37
	s_mul_hi_u32 s37, s0, s36
	s_load_dwordx2 s[38:39], s[28:29], 0x0
	s_add_i32 s35, s37, s35
	s_mul_i32 s37, s1, s36
	s_mul_i32 s20, s36, s20
	s_add_i32 s35, s35, s37
	s_mul_i32 s36, s0, s36
	s_sub_u32 s26, s26, s36
	s_subb_u32 s27, s27, s35
	s_waitcnt lgkmcnt(0)
	s_mul_i32 s27, s38, s27
	s_mul_hi_u32 s35, s38, s26
	s_add_i32 s27, s35, s27
	s_mul_i32 s35, s39, s26
	s_add_i32 s27, s27, s35
	s_mul_i32 s26, s38, s26
	s_add_u32 s40, s26, s40
	s_addc_u32 s33, s27, s33
	s_add_u32 s30, s30, 1
	s_addc_u32 s31, s31, 0
	;; [unrolled: 2-line block ×3, first 2 shown]
	s_add_u32 s12, s12, 8
	v_cmp_ge_u64_e32 vcc, s[30:31], v[2:3]
	s_addc_u32 s13, s13, 0
	s_cbranch_vccnz .LBB0_10
; %bb.8:                                ;   in Loop: Header=BB0_4 Depth=1
	s_mov_b64 s[26:27], s[0:1]
	s_branch .LBB0_4
.LBB0_9:                                ;   in Loop: Header=BB0_4 Depth=1
                                        ; implicit-def: $sgpr0_sgpr1
	s_branch .LBB0_6
.LBB0_10:
	v_mov_b64_e32 v[2:3], s[20:21]
	v_cmp_lt_u64_e32 vcc, s[2:3], v[2:3]
	s_mov_b64 s[26:27], 0
	s_cbranch_vccnz .LBB0_12
; %bb.11:
	v_cvt_f32_u32_e32 v0, s20
	s_sub_i32 s0, 0, s20
	v_rcp_iflag_f32_e32 v0, v0
	s_nop 0
	v_mul_f32_e32 v0, 0x4f7ffffe, v0
	v_cvt_u32_f32_e32 v0, v0
	s_nop 0
	v_readfirstlane_b32 s1, v0
	s_mul_i32 s0, s0, s1
	s_mul_hi_u32 s0, s1, s0
	s_add_i32 s1, s1, s0
	s_mul_hi_u32 s0, s2, s1
	s_mul_i32 s3, s0, s20
	s_sub_i32 s2, s2, s3
	s_add_i32 s1, s0, 1
	s_sub_i32 s3, s2, s20
	s_cmp_ge_u32 s2, s20
	s_cselect_b32 s0, s1, s0
	s_cselect_b32 s2, s3, s2
	s_add_i32 s1, s0, 1
	s_cmp_ge_u32 s2, s20
	s_cselect_b32 s26, s1, s0
.LBB0_12:
	s_lshl_b64 s[0:1], s[10:11], 3
	s_add_u32 s0, s14, s0
	s_addc_u32 s1, s15, s1
	s_load_dwordx2 s[0:1], s[0:1], 0x0
	v_mul_u32_u24_e32 v0, 0x1556, v124
	v_lshrrev_b32_e32 v80, 16, v0
	v_mul_lo_u16_e32 v0, 12, v80
	v_sub_u16_e32 v70, v124, v0
	s_waitcnt lgkmcnt(0)
	s_mul_i32 s1, s1, s26
	s_mul_hi_u32 s2, s0, s26
	s_mul_i32 s0, s0, s26
	s_add_i32 s1, s2, s1
	s_add_u32 s2, s0, s40
	s_addc_u32 s3, s1, s33
	s_mov_b32 s0, 0
	v_mov_b32_e32 v71, s0
	s_add_u32 s0, s24, 12
	v_lshl_add_u64 v[72:73], s[24:25], 0, v[70:71]
	s_addc_u32 s1, s25, 0
	v_mov_b64_e32 v[2:3], s[18:19]
	v_cmp_le_u64_e32 vcc, s[0:1], v[2:3]
	v_cmp_gt_u64_e64 s[0:1], s[18:19], v[72:73]
	s_or_b64 s[48:49], vcc, s[0:1]
                                        ; implicit-def: $vgpr56_vgpr57
                                        ; implicit-def: $vgpr52_vgpr53
                                        ; implicit-def: $vgpr44_vgpr45
                                        ; implicit-def: $vgpr36_vgpr37
                                        ; implicit-def: $vgpr24_vgpr25
                                        ; implicit-def: $vgpr12_vgpr13
                                        ; implicit-def: $vgpr16_vgpr17
                                        ; implicit-def: $vgpr20_vgpr21
                                        ; implicit-def: $vgpr28_vgpr29
                                        ; implicit-def: $vgpr32_vgpr33
                                        ; implicit-def: $vgpr40_vgpr41
                                        ; implicit-def: $vgpr48_vgpr49
                                        ; implicit-def: $vgpr8_vgpr9
	s_and_saveexec_b64 s[0:1], s[48:49]
	s_cbranch_execz .LBB0_14
; %bb.13:
	v_mad_u64_u32 v[2:3], s[10:11], s6, v70, 0
	v_mov_b32_e32 v4, v3
	v_mad_u64_u32 v[4:5], s[10:11], s7, v70, v[4:5]
	v_mov_b32_e32 v3, v4
	;; [unrolled: 2-line block ×3, first 2 shown]
	v_mad_u64_u32 v[6:7], s[10:11], s5, v80, v[6:7]
	s_lshl_b64 s[10:11], s[2:3], 4
	s_add_u32 s10, s16, s10
	s_addc_u32 s11, s17, s11
	v_add_u32_e32 v0, 13, v80
	v_mov_b32_e32 v5, v6
	v_lshl_add_u64 v[2:3], v[2:3], 4, s[10:11]
	v_mad_u64_u32 v[6:7], s[10:11], s4, v0, 0
	v_mov_b32_e32 v8, v7
	v_mad_u64_u32 v[8:9], s[10:11], s5, v0, v[8:9]
	v_lshl_add_u64 v[4:5], v[4:5], 4, v[2:3]
	v_mov_b32_e32 v7, v8
	v_add_u32_e32 v0, 26, v80
	v_lshl_add_u64 v[10:11], v[6:7], 4, v[2:3]
	global_load_dwordx4 v[6:9], v[4:5], off
	global_load_dwordx4 v[46:49], v[10:11], off
	v_mad_u64_u32 v[4:5], s[10:11], s4, v0, 0
	v_mov_b32_e32 v10, v5
	v_mad_u64_u32 v[10:11], s[10:11], s5, v0, v[10:11]
	v_add_u32_e32 v0, 39, v80
	v_mov_b32_e32 v5, v10
	v_mad_u64_u32 v[10:11], s[10:11], s4, v0, 0
	v_mov_b32_e32 v12, v11
	v_mad_u64_u32 v[12:13], s[10:11], s5, v0, v[12:13]
	v_lshl_add_u64 v[4:5], v[4:5], 4, v[2:3]
	v_mov_b32_e32 v11, v12
	v_add_u32_e32 v0, 52, v80
	v_lshl_add_u64 v[10:11], v[10:11], 4, v[2:3]
	global_load_dwordx4 v[38:41], v[4:5], off
	global_load_dwordx4 v[30:33], v[10:11], off
	v_mad_u64_u32 v[4:5], s[10:11], s4, v0, 0
	v_mov_b32_e32 v10, v5
	v_mad_u64_u32 v[10:11], s[10:11], s5, v0, v[10:11]
	v_add_u32_e32 v0, 0x41, v80
	v_mov_b32_e32 v5, v10
	;; [unrolled: 14-line block ×5, first 2 shown]
	v_mad_u64_u32 v[42:43], s[10:11], s4, v0, 0
	v_mov_b32_e32 v44, v43
	v_mad_u64_u32 v[44:45], s[10:11], s5, v0, v[44:45]
	v_lshl_add_u64 v[4:5], v[4:5], 4, v[2:3]
	v_mov_b32_e32 v43, v44
	v_add_u32_e32 v0, 0x9c, v80
	v_lshl_add_u64 v[54:55], v[42:43], 4, v[2:3]
	global_load_dwordx4 v[42:45], v[4:5], off
	global_load_dwordx4 v[50:53], v[54:55], off
	v_mad_u64_u32 v[4:5], s[10:11], s4, v0, 0
	v_mov_b32_e32 v54, v5
	v_mad_u64_u32 v[54:55], s[10:11], s5, v0, v[54:55]
	v_mov_b32_e32 v5, v54
	v_lshl_add_u64 v[2:3], v[4:5], 4, v[2:3]
	global_load_dwordx4 v[54:57], v[2:3], off
.LBB0_14:
	s_or_b64 exec, exec, s[0:1]
	s_waitcnt vmcnt(11)
	v_add_f64 v[4:5], v[48:49], v[8:9]
	v_add_f64 v[2:3], v[46:47], v[6:7]
	s_waitcnt vmcnt(10)
	v_add_f64 v[4:5], v[40:41], v[4:5]
	v_add_f64 v[2:3], v[38:39], v[2:3]
	;; [unrolled: 3-line block ×10, first 2 shown]
	s_waitcnt vmcnt(1)
	v_add_f64 v[4:5], v[52:53], v[4:5]
	s_mov_b32 s50, 0x4267c47c
	s_mov_b32 s30, 0x42a4c3d2
	;; [unrolled: 1-line block ×6, first 2 shown]
	v_add_f64 v[2:3], v[50:51], v[2:3]
	s_waitcnt vmcnt(0)
	v_add_f64 v[4:5], v[56:57], v[4:5]
	v_add_f64 v[58:59], v[56:57], v[48:49]
	v_add_f64 v[56:57], v[48:49], -v[56:57]
	s_mov_b32 s51, 0xbfddbe06
	s_mov_b32 s0, 0xe00740e9
	;; [unrolled: 1-line block ×12, first 2 shown]
	v_add_f64 v[2:3], v[54:55], v[2:3]
	v_add_f64 v[60:61], v[54:55], v[46:47]
	v_add_f64 v[54:55], v[46:47], -v[54:55]
	v_add_f64 v[46:47], v[52:53], v[40:41]
	v_add_f64 v[40:41], v[40:41], -v[52:53]
	;; [unrolled: 2-line block ×6, first 2 shown]
	s_mov_b32 s1, 0x3fec55a7
	v_mul_f64 v[10:11], v[56:57], s[50:51]
	s_mov_b32 s11, 0x3fe22d96
	v_mul_f64 v[14:15], v[56:57], s[30:31]
	;; [unrolled: 2-line block ×5, first 2 shown]
	v_mul_f64 v[56:57], v[56:57], s[28:29]
	s_mov_b32 s21, 0xbfef11f4
	v_add_f64 v[48:49], v[50:51], v[38:39]
	v_add_f64 v[38:39], v[38:39], -v[50:51]
	v_add_f64 v[50:51], v[44:45], v[32:33]
	v_add_f64 v[32:33], v[32:33], -v[44:45]
	;; [unrolled: 2-line block ×5, first 2 shown]
	v_fma_f64 v[12:13], s[0:1], v[60:61], v[10:11]
	v_fma_f64 v[10:11], v[60:61], s[0:1], -v[10:11]
	v_fma_f64 v[16:17], s[10:11], v[60:61], v[14:15]
	v_fma_f64 v[14:15], v[60:61], s[10:11], -v[14:15]
	;; [unrolled: 2-line block ×6, first 2 shown]
	v_mul_f64 v[60:61], v[54:55], s[50:51]
	v_fma_f64 v[78:79], v[58:59], s[0:1], -v[60:61]
	v_fmac_f64_e32 v[60:61], s[0:1], v[58:59]
	v_mul_f64 v[88:89], v[54:55], s[30:31]
	v_mul_f64 v[92:93], v[54:55], s[34:35]
	;; [unrolled: 1-line block ×5, first 2 shown]
	v_fma_f64 v[90:91], v[58:59], s[10:11], -v[88:89]
	v_fmac_f64_e32 v[88:89], s[10:11], v[58:59]
	v_fma_f64 v[94:95], v[58:59], s[12:13], -v[92:93]
	v_fmac_f64_e32 v[92:93], s[12:13], v[58:59]
	;; [unrolled: 2-line block ×5, first 2 shown]
	v_add_f64 v[12:13], v[6:7], v[12:13]
	v_add_f64 v[108:109], v[6:7], v[10:11]
	v_add_f64 v[110:111], v[8:9], v[60:61]
	v_add_f64 v[16:17], v[6:7], v[16:17]
	v_add_f64 v[14:15], v[6:7], v[14:15]
	v_add_f64 v[112:113], v[6:7], v[20:21]
	v_add_f64 v[114:115], v[6:7], v[18:19]
	v_add_f64 v[116:117], v[6:7], v[76:77]
	v_add_f64 v[118:119], v[6:7], v[74:75]
	v_add_f64 v[120:121], v[6:7], v[82:83]
	v_add_f64 v[76:77], v[6:7], v[84:85]
	v_add_f64 v[60:61], v[6:7], v[86:87]
	v_add_f64 v[56:57], v[6:7], v[56:57]
	v_mul_f64 v[6:7], v[40:41], s[30:31]
	v_add_f64 v[106:107], v[8:9], v[78:79]
	v_add_f64 v[90:91], v[8:9], v[90:91]
	;; [unrolled: 1-line block ×11, first 2 shown]
	v_fma_f64 v[8:9], s[10:11], v[48:49], v[6:7]
	v_mul_f64 v[18:19], v[38:39], s[30:31]
	v_mul_f64 v[20:21], v[32:33], s[34:35]
	v_add_f64 v[8:9], v[8:9], v[12:13]
	v_fma_f64 v[10:11], v[46:47], s[10:11], -v[18:19]
	v_fma_f64 v[12:13], s[12:13], v[52:53], v[20:21]
	v_mul_f64 v[82:83], v[30:31], s[34:35]
	v_add_f64 v[10:11], v[10:11], v[106:107]
	v_add_f64 v[8:9], v[12:13], v[8:9]
	v_fma_f64 v[12:13], v[50:51], s[12:13], -v[82:83]
	v_mul_f64 v[84:85], v[28:29], s[24:25]
	v_add_f64 v[10:11], v[12:13], v[10:11]
	v_fma_f64 v[12:13], s[14:15], v[44:45], v[84:85]
	v_mul_f64 v[86:87], v[26:27], s[24:25]
	v_add_f64 v[8:9], v[12:13], v[8:9]
	v_fma_f64 v[12:13], v[42:43], s[14:15], -v[86:87]
	v_mul_f64 v[100:101], v[24:25], s[26:27]
	v_add_f64 v[10:11], v[12:13], v[10:11]
	v_fma_f64 v[12:13], s[18:19], v[36:37], v[100:101]
	v_mul_f64 v[102:103], v[22:23], s[26:27]
	v_fmac_f64_e32 v[18:19], s[10:11], v[46:47]
	v_add_f64 v[8:9], v[12:13], v[8:9]
	v_fma_f64 v[12:13], v[34:35], s[18:19], -v[102:103]
	v_mul_f64 v[104:105], v[68:69], s[28:29]
	v_add_f64 v[18:19], v[18:19], v[110:111]
	v_fmac_f64_e32 v[82:83], s[12:13], v[50:51]
	v_add_f64 v[12:13], v[12:13], v[10:11]
	v_fma_f64 v[10:11], s[20:21], v[64:65], v[104:105]
	v_fma_f64 v[6:7], v[48:49], s[10:11], -v[6:7]
	v_add_f64 v[18:19], v[82:83], v[18:19]
	v_fmac_f64_e32 v[86:87], s[14:15], v[42:43]
	v_add_f64 v[10:11], v[10:11], v[8:9]
	v_mul_f64 v[8:9], v[66:67], s[28:29]
	v_add_f64 v[6:7], v[6:7], v[108:109]
	v_fma_f64 v[20:21], v[52:53], s[12:13], -v[20:21]
	v_add_f64 v[18:19], v[86:87], v[18:19]
	v_fmac_f64_e32 v[102:103], s[18:19], v[34:35]
	v_fma_f64 v[106:107], v[62:63], s[20:21], -v[8:9]
	v_add_f64 v[6:7], v[20:21], v[6:7]
	v_fma_f64 v[20:21], v[44:45], s[14:15], -v[84:85]
	v_add_f64 v[18:19], v[102:103], v[18:19]
	v_fmac_f64_e32 v[8:9], s[20:21], v[62:63]
	v_mul_f64 v[82:83], v[40:41], s[24:25]
	v_add_f64 v[6:7], v[20:21], v[6:7]
	v_fma_f64 v[20:21], v[36:37], s[18:19], -v[100:101]
	v_add_f64 v[8:9], v[8:9], v[18:19]
	v_fma_f64 v[18:19], s[14:15], v[48:49], v[82:83]
	v_mul_f64 v[84:85], v[38:39], s[24:25]
	v_add_f64 v[6:7], v[20:21], v[6:7]
	v_fma_f64 v[20:21], v[64:65], s[20:21], -v[104:105]
	v_add_f64 v[16:17], v[18:19], v[16:17]
	v_fma_f64 v[18:19], v[46:47], s[14:15], -v[84:85]
	v_mul_f64 v[86:87], v[32:33], s[28:29]
	v_add_f64 v[6:7], v[20:21], v[6:7]
	v_add_f64 v[18:19], v[18:19], v[90:91]
	v_fma_f64 v[20:21], s[20:21], v[52:53], v[86:87]
	v_mul_f64 v[90:91], v[30:31], s[28:29]
	s_mov_b32 s41, 0x3fe5384d
	s_mov_b32 s40, s26
	v_add_f64 v[16:17], v[20:21], v[16:17]
	v_fma_f64 v[20:21], v[50:51], s[20:21], -v[90:91]
	v_mul_f64 v[100:101], v[28:29], s[40:41]
	v_add_f64 v[18:19], v[20:21], v[18:19]
	v_fma_f64 v[20:21], s[18:19], v[44:45], v[100:101]
	v_mul_f64 v[102:103], v[26:27], s[40:41]
	s_mov_b32 s37, 0x3fefc445
	s_mov_b32 s36, s34
	v_add_f64 v[16:17], v[20:21], v[16:17]
	v_fma_f64 v[20:21], v[42:43], s[18:19], -v[102:103]
	v_mul_f64 v[104:105], v[24:25], s[36:37]
	v_add_f64 v[12:13], v[106:107], v[12:13]
	v_add_f64 v[18:19], v[20:21], v[18:19]
	v_fma_f64 v[20:21], s[12:13], v[36:37], v[104:105]
	v_mul_f64 v[106:107], v[22:23], s[36:37]
	s_mov_b32 s39, 0x3fddbe06
	s_mov_b32 s38, s50
	v_fma_f64 v[82:83], v[48:49], s[14:15], -v[82:83]
	v_fmac_f64_e32 v[84:85], s[14:15], v[46:47]
	v_add_f64 v[16:17], v[20:21], v[16:17]
	v_fma_f64 v[20:21], v[34:35], s[12:13], -v[106:107]
	v_mul_f64 v[108:109], v[68:69], s[38:39]
	v_add_f64 v[14:15], v[82:83], v[14:15]
	v_add_f64 v[82:83], v[84:85], v[88:89]
	v_fma_f64 v[84:85], v[52:53], s[20:21], -v[86:87]
	v_fmac_f64_e32 v[90:91], s[20:21], v[50:51]
	v_add_f64 v[20:21], v[20:21], v[18:19]
	v_fma_f64 v[18:19], s[0:1], v[64:65], v[108:109]
	v_add_f64 v[14:15], v[84:85], v[14:15]
	v_add_f64 v[82:83], v[90:91], v[82:83]
	v_fma_f64 v[84:85], v[44:45], s[18:19], -v[100:101]
	v_fmac_f64_e32 v[102:103], s[18:19], v[42:43]
	v_add_f64 v[18:19], v[18:19], v[16:17]
	v_mul_f64 v[16:17], v[66:67], s[38:39]
	v_add_f64 v[14:15], v[84:85], v[14:15]
	v_add_f64 v[82:83], v[102:103], v[82:83]
	v_fma_f64 v[84:85], v[36:37], s[12:13], -v[104:105]
	v_fmac_f64_e32 v[106:107], s[12:13], v[34:35]
	v_fma_f64 v[110:111], v[62:63], s[0:1], -v[16:17]
	v_add_f64 v[14:15], v[84:85], v[14:15]
	v_add_f64 v[82:83], v[106:107], v[82:83]
	v_fma_f64 v[84:85], v[64:65], s[0:1], -v[108:109]
	v_fmac_f64_e32 v[16:17], s[0:1], v[62:63]
	v_mul_f64 v[86:87], v[40:41], s[28:29]
	v_mul_f64 v[88:89], v[38:39], s[28:29]
	s_mov_b32 s47, 0x3fedeba7
	s_mov_b32 s46, s24
	v_add_f64 v[14:15], v[84:85], v[14:15]
	v_add_f64 v[16:17], v[16:17], v[82:83]
	v_fma_f64 v[82:83], s[20:21], v[48:49], v[86:87]
	v_fma_f64 v[84:85], v[46:47], s[20:21], -v[88:89]
	v_mul_f64 v[90:91], v[32:33], s[46:47]
	v_add_f64 v[82:83], v[82:83], v[112:113]
	v_add_f64 v[84:85], v[84:85], v[94:95]
	v_fma_f64 v[94:95], s[14:15], v[52:53], v[90:91]
	v_add_f64 v[82:83], v[94:95], v[82:83]
	v_mul_f64 v[94:95], v[30:31], s[46:47]
	v_fma_f64 v[100:101], v[50:51], s[14:15], -v[94:95]
	v_add_f64 v[84:85], v[100:101], v[84:85]
	v_mul_f64 v[100:101], v[28:29], s[38:39]
	v_fma_f64 v[102:103], s[0:1], v[44:45], v[100:101]
	v_add_f64 v[82:83], v[102:103], v[82:83]
	v_mul_f64 v[102:103], v[26:27], s[38:39]
	v_fma_f64 v[104:105], v[42:43], s[0:1], -v[102:103]
	v_add_f64 v[84:85], v[104:105], v[84:85]
	v_mul_f64 v[104:105], v[24:25], s[30:31]
	v_fma_f64 v[106:107], s[10:11], v[36:37], v[104:105]
	v_fma_f64 v[86:87], v[48:49], s[20:21], -v[86:87]
	v_add_f64 v[82:83], v[106:107], v[82:83]
	v_mul_f64 v[106:107], v[22:23], s[30:31]
	v_add_f64 v[86:87], v[86:87], v[114:115]
	v_fma_f64 v[90:91], v[52:53], s[14:15], -v[90:91]
	v_fma_f64 v[108:109], v[34:35], s[10:11], -v[106:107]
	v_fmac_f64_e32 v[88:89], s[20:21], v[46:47]
	v_add_f64 v[86:87], v[90:91], v[86:87]
	v_fma_f64 v[90:91], v[44:45], s[0:1], -v[100:101]
	v_add_f64 v[84:85], v[108:109], v[84:85]
	v_mul_f64 v[108:109], v[68:69], s[26:27]
	v_add_f64 v[88:89], v[88:89], v[92:93]
	v_fmac_f64_e32 v[94:95], s[14:15], v[50:51]
	v_add_f64 v[86:87], v[90:91], v[86:87]
	v_fma_f64 v[90:91], v[36:37], s[10:11], -v[104:105]
	v_mul_f64 v[100:101], v[38:39], s[40:41]
	v_add_f64 v[88:89], v[94:95], v[88:89]
	v_add_f64 v[86:87], v[90:91], v[86:87]
	v_fma_f64 v[90:91], v[64:65], s[18:19], -v[108:109]
	v_mul_f64 v[94:95], v[40:41], s[40:41]
	v_fma_f64 v[92:93], v[46:47], s[18:19], -v[100:101]
	v_fmac_f64_e32 v[102:103], s[0:1], v[42:43]
	v_add_f64 v[86:87], v[90:91], v[86:87]
	v_fma_f64 v[90:91], s[18:19], v[48:49], v[94:95]
	v_add_f64 v[92:93], v[92:93], v[98:99]
	v_mul_f64 v[98:99], v[32:33], s[38:39]
	v_add_f64 v[88:89], v[102:103], v[88:89]
	v_add_f64 v[90:91], v[90:91], v[116:117]
	v_fma_f64 v[102:103], s[0:1], v[52:53], v[98:99]
	v_add_f64 v[90:91], v[102:103], v[90:91]
	v_mul_f64 v[102:103], v[30:31], s[38:39]
	v_fma_f64 v[104:105], v[50:51], s[0:1], -v[102:103]
	v_fmac_f64_e32 v[106:107], s[10:11], v[34:35]
	v_add_f64 v[92:93], v[104:105], v[92:93]
	v_mul_f64 v[104:105], v[28:29], s[34:35]
	v_add_f64 v[88:89], v[106:107], v[88:89]
	v_fma_f64 v[106:107], s[12:13], v[44:45], v[104:105]
	v_add_f64 v[20:21], v[110:111], v[20:21]
	v_fma_f64 v[110:111], s[18:19], v[64:65], v[108:109]
	v_add_f64 v[90:91], v[106:107], v[90:91]
	v_mul_f64 v[106:107], v[26:27], s[34:35]
	v_add_f64 v[82:83], v[110:111], v[82:83]
	v_mul_f64 v[110:111], v[66:67], s[26:27]
	v_fma_f64 v[108:109], v[42:43], s[12:13], -v[106:107]
	s_mov_b32 s45, 0x3fcea1e5
	s_mov_b32 s44, s28
	v_fma_f64 v[112:113], v[62:63], s[18:19], -v[110:111]
	v_fmac_f64_e32 v[110:111], s[18:19], v[62:63]
	v_add_f64 v[92:93], v[108:109], v[92:93]
	v_mul_f64 v[108:109], v[24:25], s[44:45]
	v_add_f64 v[88:89], v[110:111], v[88:89]
	v_fma_f64 v[110:111], s[20:21], v[36:37], v[108:109]
	v_fma_f64 v[94:95], v[48:49], s[18:19], -v[94:95]
	v_add_f64 v[90:91], v[110:111], v[90:91]
	v_mul_f64 v[110:111], v[22:23], s[44:45]
	v_add_f64 v[94:95], v[94:95], v[118:119]
	v_fma_f64 v[98:99], v[52:53], s[0:1], -v[98:99]
	v_add_f64 v[84:85], v[112:113], v[84:85]
	v_fma_f64 v[112:113], v[34:35], s[20:21], -v[110:111]
	s_mov_b32 s43, 0x3fea55e2
	s_mov_b32 s42, s30
	v_fmac_f64_e32 v[100:101], s[18:19], v[46:47]
	v_add_f64 v[94:95], v[98:99], v[94:95]
	v_fma_f64 v[98:99], v[44:45], s[12:13], -v[104:105]
	v_add_f64 v[92:93], v[112:113], v[92:93]
	v_mul_f64 v[112:113], v[68:69], s[42:43]
	v_add_f64 v[96:97], v[100:101], v[96:97]
	v_fmac_f64_e32 v[102:103], s[0:1], v[50:51]
	v_add_f64 v[94:95], v[98:99], v[94:95]
	v_fma_f64 v[98:99], v[36:37], s[20:21], -v[108:109]
	v_add_f64 v[96:97], v[102:103], v[96:97]
	v_fmac_f64_e32 v[106:107], s[12:13], v[42:43]
	v_add_f64 v[94:95], v[98:99], v[94:95]
	v_fma_f64 v[98:99], v[64:65], s[10:11], -v[112:113]
	v_mul_f64 v[102:103], v[40:41], s[36:37]
	v_mul_f64 v[104:105], v[38:39], s[36:37]
	v_add_f64 v[96:97], v[106:107], v[96:97]
	v_add_f64 v[94:95], v[98:99], v[94:95]
	v_fma_f64 v[98:99], s[12:13], v[48:49], v[102:103]
	v_fma_f64 v[100:101], v[46:47], s[12:13], -v[104:105]
	v_mul_f64 v[106:107], v[32:33], s[30:31]
	v_fma_f64 v[114:115], s[10:11], v[64:65], v[112:113]
	v_fmac_f64_e32 v[110:111], s[20:21], v[34:35]
	v_add_f64 v[98:99], v[98:99], v[120:121]
	v_add_f64 v[78:79], v[100:101], v[78:79]
	v_fma_f64 v[100:101], s[10:11], v[52:53], v[106:107]
	v_mul_f64 v[108:109], v[30:31], s[30:31]
	v_add_f64 v[90:91], v[114:115], v[90:91]
	v_mul_f64 v[114:115], v[66:67], s[42:43]
	v_add_f64 v[96:97], v[110:111], v[96:97]
	v_add_f64 v[98:99], v[100:101], v[98:99]
	v_fma_f64 v[100:101], v[50:51], s[10:11], -v[108:109]
	v_mul_f64 v[110:111], v[28:29], s[44:45]
	v_fma_f64 v[116:117], v[62:63], s[10:11], -v[114:115]
	v_fmac_f64_e32 v[114:115], s[10:11], v[62:63]
	v_add_f64 v[78:79], v[100:101], v[78:79]
	v_fma_f64 v[100:101], s[20:21], v[44:45], v[110:111]
	v_mul_f64 v[112:113], v[26:27], s[44:45]
	v_add_f64 v[96:97], v[114:115], v[96:97]
	v_add_f64 v[98:99], v[100:101], v[98:99]
	v_fma_f64 v[100:101], v[42:43], s[20:21], -v[112:113]
	v_mul_f64 v[114:115], v[24:25], s[38:39]
	v_add_f64 v[92:93], v[116:117], v[92:93]
	v_add_f64 v[78:79], v[100:101], v[78:79]
	v_fma_f64 v[100:101], s[0:1], v[36:37], v[114:115]
	v_mul_f64 v[116:117], v[22:23], s[38:39]
	v_add_f64 v[98:99], v[100:101], v[98:99]
	v_fma_f64 v[100:101], v[34:35], s[0:1], -v[116:117]
	v_mul_f64 v[118:119], v[68:69], s[24:25]
	v_add_f64 v[78:79], v[100:101], v[78:79]
	v_fma_f64 v[100:101], s[14:15], v[64:65], v[118:119]
	v_mul_f64 v[120:121], v[66:67], s[24:25]
	v_add_f64 v[98:99], v[100:101], v[98:99]
	v_fma_f64 v[100:101], v[62:63], s[14:15], -v[120:121]
	v_add_f64 v[100:101], v[100:101], v[78:79]
	v_fma_f64 v[78:79], v[48:49], s[12:13], -v[102:103]
	v_fmac_f64_e32 v[104:105], s[12:13], v[46:47]
	v_add_f64 v[76:77], v[78:79], v[76:77]
	v_add_f64 v[74:75], v[104:105], v[74:75]
	v_fma_f64 v[78:79], v[52:53], s[10:11], -v[106:107]
	v_fmac_f64_e32 v[108:109], s[10:11], v[50:51]
	v_add_f64 v[76:77], v[78:79], v[76:77]
	;; [unrolled: 4-line block ×4, first 2 shown]
	v_add_f64 v[78:79], v[116:117], v[74:75]
	v_fma_f64 v[74:75], v[64:65], s[14:15], -v[118:119]
	v_fmac_f64_e32 v[120:121], s[14:15], v[62:63]
	v_mul_f64 v[40:41], v[40:41], s[38:39]
	v_add_f64 v[74:75], v[74:75], v[76:77]
	v_add_f64 v[76:77], v[120:121], v[78:79]
	v_fma_f64 v[78:79], s[0:1], v[48:49], v[40:41]
	v_mul_f64 v[38:39], v[38:39], s[38:39]
	v_add_f64 v[60:61], v[78:79], v[60:61]
	v_fma_f64 v[78:79], v[46:47], s[0:1], -v[38:39]
	v_mul_f64 v[32:33], v[32:33], s[26:27]
	v_add_f64 v[58:59], v[78:79], v[58:59]
	v_fma_f64 v[78:79], s[18:19], v[52:53], v[32:33]
	v_mul_f64 v[30:31], v[30:31], s[26:27]
	v_add_f64 v[60:61], v[78:79], v[60:61]
	v_fma_f64 v[78:79], v[50:51], s[18:19], -v[30:31]
	v_mul_f64 v[28:29], v[28:29], s[42:43]
	v_add_f64 v[58:59], v[78:79], v[58:59]
	v_fma_f64 v[78:79], s[10:11], v[44:45], v[28:29]
	v_mul_f64 v[26:27], v[26:27], s[42:43]
	v_add_f64 v[60:61], v[78:79], v[60:61]
	v_fma_f64 v[78:79], v[42:43], s[10:11], -v[26:27]
	v_add_f64 v[58:59], v[78:79], v[58:59]
	v_mul_f64 v[78:79], v[24:25], s[24:25]
	v_fma_f64 v[24:25], s[14:15], v[36:37], v[78:79]
	v_fma_f64 v[40:41], v[48:49], s[0:1], -v[40:41]
	v_fmac_f64_e32 v[38:39], s[0:1], v[46:47]
	v_add_f64 v[24:25], v[24:25], v[60:61]
	v_mul_f64 v[60:61], v[22:23], s[24:25]
	v_add_f64 v[40:41], v[40:41], v[56:57]
	v_add_f64 v[38:39], v[38:39], v[54:55]
	v_fma_f64 v[32:33], v[52:53], s[18:19], -v[32:33]
	v_fmac_f64_e32 v[30:31], s[18:19], v[50:51]
	v_fma_f64 v[22:23], v[34:35], s[14:15], -v[60:61]
	v_mul_f64 v[68:69], v[68:69], s[36:37]
	v_add_f64 v[32:33], v[32:33], v[40:41]
	v_add_f64 v[30:31], v[30:31], v[38:39]
	v_fma_f64 v[28:29], v[44:45], s[10:11], -v[28:29]
	v_fmac_f64_e32 v[26:27], s[10:11], v[42:43]
	s_movk_i32 s33, 0x9c0
	v_add_f64 v[58:59], v[22:23], v[58:59]
	v_fma_f64 v[22:23], s[12:13], v[64:65], v[68:69]
	v_mul_f64 v[66:67], v[66:67], s[36:37]
	v_add_f64 v[28:29], v[28:29], v[32:33]
	v_add_f64 v[26:27], v[26:27], v[30:31]
	v_fma_f64 v[30:31], v[36:37], s[14:15], -v[78:79]
	v_fmac_f64_e32 v[60:61], s[14:15], v[34:35]
	v_mad_u32_u24 v42, v80, s33, 0
	v_add_f64 v[22:23], v[22:23], v[24:25]
	v_fma_f64 v[24:25], v[62:63], s[12:13], -v[66:67]
	v_add_f64 v[28:29], v[30:31], v[28:29]
	v_add_f64 v[30:31], v[60:61], v[26:27]
	v_fma_f64 v[26:27], v[64:65], s[12:13], -v[68:69]
	v_fmac_f64_e32 v[66:67], s[12:13], v[62:63]
	v_lshl_add_u32 v0, v70, 4, v42
	v_add_f64 v[24:25], v[24:25], v[58:59]
	v_add_f64 v[26:27], v[26:27], v[28:29]
	;; [unrolled: 1-line block ×3, first 2 shown]
	ds_write_b128 v0, v[2:5]
	ds_write_b128 v0, v[10:13] offset:192
	ds_write_b128 v0, v[18:21] offset:384
	ds_write_b128 v0, v[82:85] offset:576
	ds_write_b128 v0, v[90:93] offset:768
	ds_write_b128 v0, v[98:101] offset:960
	ds_write_b128 v0, v[22:25] offset:1152
	ds_write_b128 v0, v[26:29] offset:1344
	ds_write_b128 v0, v[74:77] offset:1536
	ds_write_b128 v0, v[94:97] offset:1728
	ds_write_b128 v0, v[86:89] offset:1920
	ds_write_b128 v0, v[14:17] offset:2112
	ds_write_b128 v0, v[6:9] offset:2304
	s_waitcnt lgkmcnt(0)
	s_barrier
	s_and_saveexec_b64 s[52:53], s[48:49]
	s_cbranch_execz .LBB0_16
; %bb.15:
	v_mul_lo_u16_e32 v0, 20, v80
	v_mov_b32_e32 v1, 13
	v_mul_lo_u16_sdwa v0, v0, v1 dst_sel:DWORD dst_unused:UNUSED_PAD src0_sel:BYTE_1 src1_sel:DWORD
	v_sub_u16_e32 v0, v80, v0
	v_and_b32_e32 v125, 0xff, v0
	v_mul_u32_u24_e32 v0, 12, v125
	v_lshlrev_b32_e32 v0, 4, v0
	global_load_dwordx4 v[6:9], v0, s[22:23] offset:80
	global_load_dwordx4 v[2:5], v0, s[22:23] offset:96
	global_load_dwordx4 v[14:17], v0, s[22:23] offset:64
	global_load_dwordx4 v[10:13], v0, s[22:23] offset:112
	global_load_dwordx4 v[18:21], v0, s[22:23] offset:48
	global_load_dwordx4 v[38:41], v0, s[22:23] offset:128
	global_load_dwordx4 v[30:33], v0, s[22:23] offset:32
	global_load_dwordx4 v[34:37], v0, s[22:23] offset:144
	global_load_dwordx4 v[26:29], v0, s[22:23] offset:16
	global_load_dwordx4 v[22:25], v0, s[22:23] offset:160
	v_mul_i32_i24_e32 v1, 0xfffff700, v80
	v_lshlrev_b32_e32 v43, 4, v70
	v_add3_u32 v1, v42, v1, v43
	global_load_dwordx4 v[50:53], v0, s[22:23]
	ds_read_b128 v[54:57], v1 offset:14976
	ds_read_b128 v[58:61], v1 offset:17472
	;; [unrolled: 1-line block ×10, first 2 shown]
	global_load_dwordx4 v[146:149], v0, s[22:23] offset:176
	v_add_u32_e32 v0, 0x9c, v125
	v_mov_b32_e32 v71, 4
	v_mul_lo_u32 v0, v72, v0
	v_mov_b32_e32 v73, 0x1000
	v_lshlrev_b32_sdwa v74, v71, v0 dst_sel:DWORD dst_unused:UNUSED_PAD src0_sel:DWORD src1_sel:BYTE_0
	v_bfe_u32 v0, v0, 8, 8
	v_lshl_or_b32 v0, v0, 4, v73
	global_load_dwordx4 v[42:45], v74, s[8:9]
	global_load_dwordx4 v[46:49], v0, s[8:9]
	v_add_u32_e32 v0, 0x8f, v125
	v_mul_lo_u32 v0, v72, v0
	s_waitcnt vmcnt(13) lgkmcnt(9)
	v_mul_f64 v[74:75], v[56:57], v[8:9]
	s_waitcnt vmcnt(12) lgkmcnt(8)
	v_mul_f64 v[76:77], v[60:61], v[4:5]
	v_fmac_f64_e32 v[74:75], v[54:55], v[6:7]
	v_fmac_f64_e32 v[76:77], v[58:59], v[2:3]
	v_mul_f64 v[8:9], v[54:55], v[8:9]
	v_mul_f64 v[4:5], v[58:59], v[4:5]
	s_waitcnt vmcnt(7) lgkmcnt(3)
	v_mul_f64 v[88:89], v[112:113], v[32:33]
	v_mul_f64 v[32:33], v[110:111], v[32:33]
	v_fmac_f64_e32 v[88:89], v[110:111], v[30:31]
	v_fma_f64 v[110:111], v[112:113], v[30:31], -v[32:33]
	v_add_f64 v[30:31], v[74:75], -v[76:77]
	v_mul_f64 v[78:79], v[102:103], v[12:13]
	v_mul_f64 v[12:13], v[100:101], v[12:13]
	;; [unrolled: 1-line block ×4, first 2 shown]
	s_waitcnt vmcnt(6) lgkmcnt(1)
	v_mul_f64 v[84:85], v[116:117], v[36:37]
	v_mul_f64 v[36:37], v[114:115], v[36:37]
	v_fma_f64 v[94:95], v[56:57], v[6:7], -v[8:9]
	v_fma_f64 v[96:97], v[60:61], v[2:3], -v[4:5]
	v_mul_f64 v[2:3], v[30:31], s[28:29]
	v_mul_f64 v[80:81], v[64:65], v[16:17]
	;; [unrolled: 1-line block ×3, first 2 shown]
	v_fma_f64 v[98:99], v[102:103], v[10:11], -v[12:13]
	v_fma_f64 v[102:103], v[106:107], v[38:39], -v[40:41]
	;; [unrolled: 1-line block ×3, first 2 shown]
	v_add_f64 v[116:117], v[94:95], v[96:97]
	v_accvgpr_write_b32 a0, v2
	v_fmac_f64_e32 v[80:81], v[62:63], v[14:15]
	v_fmac_f64_e32 v[78:79], v[100:101], v[10:11]
	v_fma_f64 v[100:101], v[64:65], v[14:15], -v[16:17]
	v_fma_f64 v[14:15], s[20:21], v[116:117], v[2:3]
	v_accvgpr_write_b32 a1, v3
	s_waitcnt vmcnt(5)
	v_mul_f64 v[2:3], v[134:135], v[28:29]
	v_fmac_f64_e32 v[84:85], v[114:115], v[34:35]
	v_fma_f64 v[114:115], v[136:137], v[26:27], -v[2:3]
	s_waitcnt vmcnt(4) lgkmcnt(0)
	v_mul_f64 v[2:3], v[138:139], v[24:25]
	v_mul_f64 v[90:91], v[136:137], v[28:29]
	;; [unrolled: 1-line block ×3, first 2 shown]
	ds_read_b128 v[6:9], v1 offset:2496
	v_fma_f64 v[112:113], v[140:141], v[22:23], -v[2:3]
	ds_read_b128 v[2:5], v1
	ds_read_b128 v[10:13], v1 offset:29952
	v_lshlrev_b32_sdwa v1, v71, v0 dst_sel:DWORD dst_unused:UNUSED_PAD src0_sel:DWORD src1_sel:BYTE_0
	v_bfe_u32 v0, v0, 8, 8
	v_fmac_f64_e32 v[90:91], v[134:135], v[26:27]
	v_fmac_f64_e32 v[92:93], v[138:139], v[22:23]
	v_lshl_or_b32 v0, v0, 4, v73
	global_load_dwordx4 v[22:25], v1, s[8:9]
	global_load_dwordx4 v[26:29], v0, s[8:9]
	v_fmac_f64_e32 v[82:83], v[104:105], v[38:39]
	s_waitcnt vmcnt(5) lgkmcnt(2)
	v_mul_f64 v[104:105], v[8:9], v[52:53]
	v_fmac_f64_e32 v[104:105], v[6:7], v[50:51]
	s_waitcnt vmcnt(4) lgkmcnt(0)
	v_mul_f64 v[136:137], v[12:13], v[148:149]
	v_mul_f64 v[6:7], v[6:7], v[52:53]
	v_fmac_f64_e32 v[136:137], v[10:11], v[146:147]
	v_fma_f64 v[140:141], v[8:9], v[50:51], -v[6:7]
	v_mul_f64 v[6:7], v[10:11], v[148:149]
	v_add_f64 v[54:55], v[104:105], -v[136:137]
	v_fma_f64 v[138:139], v[12:13], v[146:147], -v[6:7]
	v_mul_f64 v[86:87], v[68:69], v[20:21]
	v_add_f64 v[38:39], v[90:91], -v[92:93]
	v_mul_f64 v[144:145], v[54:55], s[50:51]
	v_add_f64 v[148:149], v[140:141], v[138:139]
	v_mul_f64 v[20:21], v[66:67], v[20:21]
	v_fmac_f64_e32 v[86:87], v[66:67], v[18:19]
	v_add_f64 v[36:37], v[88:89], -v[84:85]
	v_mul_f64 v[132:133], v[38:39], s[30:31]
	v_add_f64 v[134:135], v[114:115], v[112:113]
	v_fma_f64 v[6:7], s[0:1], v[148:149], v[144:145]
	v_fma_f64 v[108:109], v[68:69], v[18:19], -v[20:21]
	v_add_f64 v[34:35], v[86:87], -v[82:83]
	v_add_f64 v[122:123], v[110:111], v[106:107]
	v_mul_f64 v[130:131], v[36:37], s[34:35]
	v_fma_f64 v[40:41], s[10:11], v[134:135], v[132:133]
	v_add_f64 v[6:7], v[4:5], v[6:7]
	v_add_f64 v[60:61], v[140:141], -v[138:139]
	v_add_f64 v[32:33], v[80:81], -v[78:79]
	v_add_f64 v[120:121], v[108:109], v[102:103]
	v_mul_f64 v[128:129], v[34:35], s[24:25]
	v_fma_f64 v[20:21], s[12:13], v[122:123], v[130:131]
	v_add_f64 v[6:7], v[40:41], v[6:7]
	v_add_f64 v[58:59], v[114:115], -v[112:113]
	v_add_f64 v[166:167], v[104:105], v[136:137]
	v_mul_f64 v[168:169], v[60:61], s[50:51]
	v_add_f64 v[118:119], v[100:101], v[98:99]
	v_mul_f64 v[126:127], v[32:33], s[26:27]
	v_fma_f64 v[18:19], s[14:15], v[120:121], v[128:129]
	v_add_f64 v[6:7], v[20:21], v[6:7]
	v_add_f64 v[56:57], v[110:111], -v[106:107]
	v_add_f64 v[164:165], v[90:91], v[92:93]
	v_mul_f64 v[162:163], v[58:59], s[30:31]
	v_fma_f64 v[20:21], v[166:167], s[0:1], -v[168:169]
	v_fma_f64 v[16:17], s[18:19], v[118:119], v[126:127]
	v_add_f64 v[6:7], v[18:19], v[6:7]
	v_add_f64 v[52:53], v[108:109], -v[102:103]
	v_add_f64 v[160:161], v[88:89], v[84:85]
	v_mul_f64 v[158:159], v[56:57], s[34:35]
	v_fma_f64 v[18:19], v[164:165], s[10:11], -v[162:163]
	v_add_f64 v[20:21], v[2:3], v[20:21]
	v_add_f64 v[6:7], v[16:17], v[6:7]
	v_add_f64 v[50:51], v[100:101], -v[98:99]
	v_add_f64 v[156:157], v[86:87], v[82:83]
	v_mul_f64 v[152:153], v[52:53], s[24:25]
	v_fma_f64 v[16:17], v[160:161], s[12:13], -v[158:159]
	v_add_f64 v[18:19], v[18:19], v[20:21]
	;; [unrolled: 6-line block ×3, first 2 shown]
	s_waitcnt vmcnt(2)
	v_mul_f64 v[8:9], v[44:45], v[48:49]
	v_add_f64 v[150:151], v[74:75], v[76:77]
	v_mul_f64 v[142:143], v[40:41], s[28:29]
	v_fma_f64 v[12:13], v[154:155], s[18:19], -v[146:147]
	v_add_f64 v[14:15], v[14:15], v[16:17]
	v_fma_f64 v[10:11], v[42:43], v[46:47], -v[8:9]
	v_fma_f64 v[8:9], v[150:151], s[20:21], -v[142:143]
	v_add_f64 v[12:13], v[12:13], v[14:15]
	v_mul_f64 v[14:15], v[42:43], v[48:49]
	v_add_u32_e32 v0, 0x82, v125
	v_add_f64 v[12:13], v[8:9], v[12:13]
	v_fmac_f64_e32 v[14:15], v[44:45], v[46:47]
	v_mul_lo_u32 v0, v72, v0
	v_mul_f64 v[8:9], v[12:13], v[14:15]
	v_lshlrev_b32_sdwa v1, v71, v0 dst_sel:DWORD dst_unused:UNUSED_PAD src0_sel:DWORD src1_sel:BYTE_0
	v_bfe_u32 v0, v0, 8, 8
	v_mul_f64 v[188:189], v[54:55], s[30:31]
	v_fma_f64 v[8:9], v[6:7], v[10:11], -v[8:9]
	v_mul_f64 v[6:7], v[6:7], v[14:15]
	v_lshl_or_b32 v0, v0, 4, v73
	global_load_dwordx4 v[14:17], v1, s[8:9]
	global_load_dwordx4 v[18:21], v0, s[8:9]
	v_mul_f64 v[184:185], v[38:39], s[24:25]
	v_fma_f64 v[48:49], s[10:11], v[148:149], v[188:189]
	v_mul_f64 v[192:193], v[60:61], s[30:31]
	v_mul_f64 v[182:183], v[36:37], s[28:29]
	v_fma_f64 v[46:47], s[14:15], v[134:135], v[184:185]
	v_add_f64 v[48:49], v[4:5], v[48:49]
	v_mul_f64 v[190:191], v[58:59], s[24:25]
	v_fma_f64 v[64:65], v[166:167], s[10:11], -v[192:193]
	v_mul_f64 v[180:181], v[34:35], s[40:41]
	v_fma_f64 v[44:45], s[20:21], v[122:123], v[182:183]
	v_add_f64 v[46:47], v[46:47], v[48:49]
	v_mul_f64 v[186:187], v[56:57], s[28:29]
	v_fma_f64 v[62:63], v[164:165], s[14:15], -v[190:191]
	v_add_f64 v[64:65], v[2:3], v[64:65]
	v_mul_f64 v[172:173], v[32:33], s[36:37]
	v_fma_f64 v[42:43], s[18:19], v[120:121], v[180:181]
	v_add_f64 v[44:45], v[44:45], v[46:47]
	v_mul_f64 v[178:179], v[52:53], s[40:41]
	v_fma_f64 v[48:49], v[160:161], s[20:21], -v[186:187]
	v_add_f64 v[62:63], v[62:63], v[64:65]
	v_fmac_f64_e32 v[6:7], v[12:13], v[10:11]
	v_mul_f64 v[170:171], v[30:31], s[38:39]
	v_fma_f64 v[12:13], s[12:13], v[118:119], v[172:173]
	v_add_f64 v[42:43], v[42:43], v[44:45]
	v_mul_f64 v[176:177], v[50:51], s[36:37]
	v_fma_f64 v[46:47], v[156:157], s[18:19], -v[178:179]
	v_add_f64 v[48:49], v[48:49], v[62:63]
	v_add_u32_e32 v0, 0x75, v125
	v_fma_f64 v[10:11], s[0:1], v[116:117], v[170:171]
	v_add_f64 v[12:13], v[12:13], v[42:43]
	v_fma_f64 v[44:45], v[154:155], s[12:13], -v[176:177]
	v_add_f64 v[46:47], v[46:47], v[48:49]
	v_mul_lo_u32 v0, v72, v0
	v_add_f64 v[10:11], v[10:11], v[12:13]
	s_waitcnt vmcnt(2)
	v_mul_f64 v[12:13], v[24:25], v[28:29]
	v_add_f64 v[44:45], v[44:45], v[46:47]
	v_mul_f64 v[46:47], v[22:23], v[28:29]
	v_lshlrev_b32_sdwa v1, v71, v0 dst_sel:DWORD dst_unused:UNUSED_PAD src0_sel:DWORD src1_sel:BYTE_0
	v_bfe_u32 v0, v0, 8, 8
	v_fma_f64 v[42:43], v[22:23], v[26:27], -v[12:13]
	v_fmac_f64_e32 v[46:47], v[24:25], v[26:27]
	v_lshl_or_b32 v0, v0, 4, v73
	global_load_dwordx4 v[22:25], v1, s[8:9]
	global_load_dwordx4 v[26:29], v0, s[8:9]
	v_mul_f64 v[174:175], v[40:41], s[38:39]
	v_fma_f64 v[12:13], v[150:151], s[0:1], -v[174:175]
	v_mul_f64 v[204:205], v[54:55], s[34:35]
	v_add_f64 v[44:45], v[12:13], v[44:45]
	v_mul_f64 v[202:203], v[38:39], s[28:29]
	v_fma_f64 v[64:65], s[12:13], v[148:149], v[204:205]
	v_mul_f64 v[12:13], v[44:45], v[46:47]
	v_mul_f64 v[200:201], v[36:37], s[46:47]
	v_fma_f64 v[62:63], s[20:21], v[134:135], v[202:203]
	v_add_f64 v[64:65], v[4:5], v[64:65]
	v_add_u32_e32 v0, 0x68, v125
	v_fma_f64 v[12:13], v[10:11], v[42:43], -v[12:13]
	v_mul_f64 v[10:11], v[10:11], v[46:47]
	v_mul_f64 v[198:199], v[34:35], s[38:39]
	v_fma_f64 v[48:49], s[14:15], v[122:123], v[200:201]
	v_add_f64 v[62:63], v[62:63], v[64:65]
	v_mul_lo_u32 v0, v72, v0
	v_fmac_f64_e32 v[10:11], v[44:45], v[42:43]
	v_mul_f64 v[196:197], v[32:33], s[30:31]
	v_fma_f64 v[44:45], s[0:1], v[120:121], v[198:199]
	v_add_f64 v[48:49], v[48:49], v[62:63]
	v_lshlrev_b32_sdwa v1, v71, v0 dst_sel:DWORD dst_unused:UNUSED_PAD src0_sel:DWORD src1_sel:BYTE_0
	v_bfe_u32 v0, v0, 8, 8
	v_fma_f64 v[42:43], s[10:11], v[118:119], v[196:197]
	v_add_f64 v[44:45], v[44:45], v[48:49]
	v_lshl_or_b32 v0, v0, 4, v73
	v_add_f64 v[48:49], v[42:43], v[44:45]
	global_load_dwordx4 v[42:45], v1, s[8:9]
	global_load_dwordx4 v[66:69], v0, s[8:9]
	v_add_u32_e32 v0, 0x5b, v125
	v_mul_lo_u32 v0, v72, v0
	v_lshlrev_b32_sdwa v1, v71, v0 dst_sel:DWORD dst_unused:UNUSED_PAD src0_sel:DWORD src1_sel:BYTE_0
	v_bfe_u32 v0, v0, 8, 8
	v_lshl_or_b32 v0, v0, 4, v73
	global_load_dwordx4 v[238:241], v1, s[8:9]
	global_load_dwordx4 v[242:245], v0, s[8:9]
	v_mul_f64 v[216:217], v[60:61], s[34:35]
	v_mul_f64 v[214:215], v[58:59], s[28:29]
	v_fma_f64 v[224:225], v[166:167], s[12:13], -v[216:217]
	v_mul_f64 v[212:213], v[56:57], s[46:47]
	v_fma_f64 v[222:223], v[164:165], s[20:21], -v[214:215]
	v_add_f64 v[224:225], v[2:3], v[224:225]
	v_mul_f64 v[194:195], v[30:31], s[26:27]
	v_mul_f64 v[210:211], v[52:53], s[38:39]
	v_fma_f64 v[220:221], v[160:161], s[14:15], -v[212:213]
	v_add_f64 v[222:223], v[222:223], v[224:225]
	v_fma_f64 v[46:47], s[18:19], v[116:117], v[194:195]
	v_mul_f64 v[208:209], v[50:51], s[30:31]
	v_fma_f64 v[218:219], v[156:157], s[0:1], -v[210:211]
	v_add_f64 v[220:221], v[220:221], v[222:223]
	v_add_f64 v[46:47], v[46:47], v[48:49]
	s_waitcnt vmcnt(6)
	v_mul_f64 v[48:49], v[16:17], v[20:21]
	v_mul_f64 v[206:207], v[40:41], s[26:27]
	v_fma_f64 v[64:65], v[154:155], s[10:11], -v[208:209]
	v_add_f64 v[218:219], v[218:219], v[220:221]
	v_mul_f64 v[236:237], v[54:55], s[24:25]
	v_fma_f64 v[48:49], v[14:15], v[18:19], -v[48:49]
	v_fma_f64 v[62:63], v[150:151], s[18:19], -v[206:207]
	v_add_f64 v[64:65], v[64:65], v[218:219]
	v_mul_f64 v[14:15], v[14:15], v[20:21]
	v_mul_f64 v[234:235], v[38:39], s[40:41]
	v_fma_f64 v[220:221], s[14:15], v[148:149], v[236:237]
	v_add_f64 v[62:63], v[62:63], v[64:65]
	v_fmac_f64_e32 v[14:15], v[16:17], v[18:19]
	v_mul_f64 v[232:233], v[36:37], s[38:39]
	v_fma_f64 v[218:219], s[18:19], v[134:135], v[234:235]
	v_add_f64 v[220:221], v[4:5], v[220:221]
	v_mul_f64 v[16:17], v[62:63], v[14:15]
	v_mul_f64 v[14:15], v[46:47], v[14:15]
	;; [unrolled: 1-line block ×3, first 2 shown]
	v_fma_f64 v[64:65], s[0:1], v[122:123], v[232:233]
	v_add_f64 v[218:219], v[218:219], v[220:221]
	v_fma_f64 v[16:17], v[46:47], v[48:49], -v[16:17]
	v_fmac_f64_e32 v[14:15], v[62:63], v[48:49]
	v_mul_f64 v[48:49], v[32:33], s[44:45]
	v_fma_f64 v[62:63], s[12:13], v[120:121], v[230:231]
	v_add_f64 v[64:65], v[64:65], v[218:219]
	v_mul_f64 v[46:47], v[30:31], s[42:43]
	v_fma_f64 v[20:21], s[20:21], v[118:119], v[48:49]
	v_add_f64 v[62:63], v[62:63], v[64:65]
	v_fma_f64 v[18:19], s[10:11], v[116:117], v[46:47]
	v_add_f64 v[20:21], v[20:21], v[62:63]
	v_add_f64 v[18:19], v[18:19], v[20:21]
	s_waitcnt vmcnt(4)
	v_mul_f64 v[20:21], v[24:25], v[28:29]
	v_fma_f64 v[62:63], v[22:23], v[26:27], -v[20:21]
	v_mul_f64 v[22:23], v[22:23], v[28:29]
	v_mul_f64 v[228:229], v[60:61], s[24:25]
	v_fmac_f64_e32 v[22:23], v[24:25], v[26:27]
	v_mul_f64 v[226:227], v[58:59], s[40:41]
	v_fma_f64 v[26:27], v[166:167], s[14:15], -v[228:229]
	v_mul_f64 v[224:225], v[56:57], s[38:39]
	v_fma_f64 v[24:25], v[164:165], s[18:19], -v[226:227]
	v_add_f64 v[26:27], v[2:3], v[26:27]
	v_mul_f64 v[222:223], v[52:53], s[34:35]
	v_add_f64 v[24:25], v[24:25], v[26:27]
	v_fma_f64 v[26:27], v[160:161], s[0:1], -v[224:225]
	v_mul_f64 v[220:221], v[50:51], s[44:45]
	v_add_f64 v[24:25], v[26:27], v[24:25]
	v_fma_f64 v[26:27], v[156:157], s[12:13], -v[222:223]
	;; [unrolled: 3-line block ×3, first 2 shown]
	v_fma_f64 v[20:21], v[150:151], s[10:11], -v[218:219]
	v_add_f64 v[24:25], v[26:27], v[24:25]
	v_add_f64 v[24:25], v[20:21], v[24:25]
	v_mul_f64 v[20:21], v[24:25], v[22:23]
	v_fma_f64 v[20:21], v[18:19], v[62:63], -v[20:21]
	v_mul_f64 v[18:19], v[18:19], v[22:23]
	v_mul_f64 v[252:253], v[54:55], s[26:27]
	v_fmac_f64_e32 v[18:19], v[24:25], v[62:63]
	s_waitcnt vmcnt(2)
	v_mul_f64 v[22:23], v[44:45], v[68:69]
	v_mul_f64 v[250:251], v[38:39], s[36:37]
	v_fma_f64 v[28:29], s[18:19], v[148:149], v[252:253]
	v_fma_f64 v[26:27], v[42:43], v[66:67], -v[22:23]
	v_mul_f64 v[22:23], v[42:43], v[68:69]
	s_waitcnt vmcnt(0)
	v_mul_f64 v[24:25], v[240:241], v[244:245]
	v_mul_f64 v[68:69], v[36:37], s[30:31]
	v_fma_f64 v[42:43], v[238:239], v[242:243], -v[24:25]
	v_fma_f64 v[24:25], s[12:13], v[134:135], v[250:251]
	v_add_f64 v[28:29], v[4:5], v[28:29]
	v_fmac_f64_e32 v[22:23], v[44:45], v[66:67]
	v_mul_f64 v[66:67], v[34:35], s[44:45]
	v_add_f64 v[24:25], v[24:25], v[28:29]
	v_fma_f64 v[28:29], s[10:11], v[122:123], v[68:69]
	v_mul_f64 v[64:65], v[32:33], s[38:39]
	v_add_f64 v[24:25], v[28:29], v[24:25]
	v_fma_f64 v[28:29], s[20:21], v[120:121], v[66:67]
	v_mul_f64 v[62:63], v[30:31], s[24:25]
	v_mul_f64 v[44:45], v[238:239], v[244:245]
	v_add_f64 v[24:25], v[28:29], v[24:25]
	v_fma_f64 v[28:29], s[0:1], v[118:119], v[64:65]
	v_fmac_f64_e32 v[44:45], v[240:241], v[242:243]
	v_add_f64 v[24:25], v[28:29], v[24:25]
	v_fma_f64 v[28:29], s[14:15], v[116:117], v[62:63]
	v_mul_f64 v[240:241], v[60:61], s[26:27]
	v_add_f64 v[28:29], v[28:29], v[24:25]
	v_fma_f64 v[24:25], v[166:167], s[18:19], -v[240:241]
	v_mul_f64 v[244:245], v[58:59], s[36:37]
	v_add_f64 v[24:25], v[2:3], v[24:25]
	v_fma_f64 v[238:239], v[164:165], s[12:13], -v[244:245]
	;; [unrolled: 3-line block ×3, first 2 shown]
	v_add_f64 v[24:25], v[238:239], v[24:25]
	v_mul_f64 v[238:239], v[52:53], s[44:45]
	v_fma_f64 v[242:243], v[156:157], s[20:21], -v[238:239]
	v_add_f64 v[24:25], v[242:243], v[24:25]
	v_mul_f64 v[242:243], v[50:51], s[38:39]
	v_fma_f64 v[248:249], v[154:155], s[0:1], -v[242:243]
	;; [unrolled: 3-line block ×3, first 2 shown]
	v_add_f64 v[254:255], v[254:255], v[24:25]
	v_mul_f64 v[24:25], v[254:255], v[22:23]
	v_mul_f64 v[22:23], v[28:29], v[22:23]
	v_mul_f64 v[54:55], v[54:55], s[28:29]
	v_fma_f64 v[24:25], v[28:29], v[26:27], -v[24:25]
	v_fmac_f64_e32 v[22:23], v[254:255], v[26:27]
	v_mul_f64 v[38:39], v[38:39], s[38:39]
	v_fma_f64 v[26:27], s[20:21], v[148:149], v[54:55]
	v_add_f64 v[26:27], v[4:5], v[26:27]
	v_fma_f64 v[28:29], s[0:1], v[134:135], v[38:39]
	v_mul_f64 v[36:37], v[36:37], s[26:27]
	v_add_f64 v[26:27], v[28:29], v[26:27]
	v_fma_f64 v[28:29], s[18:19], v[122:123], v[36:37]
	v_mul_f64 v[34:35], v[34:35], s[42:43]
	;; [unrolled: 3-line block ×5, first 2 shown]
	v_add_f64 v[26:27], v[28:29], v[26:27]
	v_mul_f64 v[58:59], v[58:59], s[38:39]
	v_fma_f64 v[28:29], v[166:167], s[20:21], -v[60:61]
	v_add_f64 v[28:29], v[2:3], v[28:29]
	v_fma_f64 v[30:31], v[164:165], s[0:1], -v[58:59]
	v_mul_f64 v[56:57], v[56:57], s[26:27]
	v_add_f64 v[28:29], v[30:31], v[28:29]
	v_fma_f64 v[30:31], v[160:161], s[18:19], -v[56:57]
	v_mul_f64 v[52:53], v[52:53], s[42:43]
	;; [unrolled: 3-line block ×4, first 2 shown]
	v_add_f64 v[28:29], v[30:31], v[28:29]
	v_fma_f64 v[30:31], v[150:151], s[12:13], -v[0:1]
	v_add_f64 v[30:31], v[30:31], v[28:29]
	v_mul_f64 v[28:29], v[30:31], v[44:45]
	v_fma_f64 v[28:29], v[26:27], v[42:43], -v[28:29]
	v_mul_f64 v[26:27], v[26:27], v[44:45]
	v_fmac_f64_e32 v[26:27], v[30:31], v[42:43]
	v_fma_f64 v[30:31], v[134:135], s[0:1], -v[38:39]
	v_fma_f64 v[38:39], v[148:149], s[20:21], -v[54:55]
	v_add_f64 v[38:39], v[4:5], v[38:39]
	v_add_f64 v[30:31], v[30:31], v[38:39]
	v_fma_f64 v[36:37], v[122:123], s[18:19], -v[36:37]
	v_add_f64 v[30:31], v[36:37], v[30:31]
	v_fma_f64 v[34:35], v[120:121], s[10:11], -v[34:35]
	v_add_f64 v[30:31], v[34:35], v[30:31]
	v_fma_f64 v[32:33], v[118:119], s[14:15], -v[32:33]
	v_add_f64 v[34:35], v[32:33], v[30:31]
	v_add_u32_e32 v30, 0x4e, v125
	v_mul_lo_u32 v30, v72, v30
	v_lshlrev_b32_sdwa v31, v71, v30 dst_sel:DWORD dst_unused:UNUSED_PAD src0_sel:DWORD src1_sel:BYTE_0
	v_bfe_u32 v30, v30, 8, 8
	v_lshl_or_b32 v36, v30, 4, v73
	global_load_dwordx4 v[30:33], v31, s[8:9]
	s_nop 0
	global_load_dwordx4 v[38:41], v36, s[8:9]
	v_fma_f64 v[36:37], v[116:117], s[12:13], -v[254:255]
	v_fmac_f64_e32 v[60:61], s[20:21], v[166:167]
	v_add_f64 v[54:55], v[36:37], v[34:35]
	v_fmac_f64_e32 v[58:59], s[0:1], v[164:165]
	v_add_f64 v[34:35], v[2:3], v[60:61]
	v_add_f64 v[34:35], v[58:59], v[34:35]
	v_fmac_f64_e32 v[56:57], s[18:19], v[160:161]
	v_fmac_f64_e32 v[52:53], s[10:11], v[156:157]
	v_add_f64 v[34:35], v[56:57], v[34:35]
	v_add_f64 v[52:53], v[52:53], v[34:35]
	v_add_u32_e32 v34, 0x41, v125
	v_mul_lo_u32 v34, v72, v34
	v_lshlrev_b32_sdwa v35, v71, v34 dst_sel:DWORD dst_unused:UNUSED_PAD src0_sel:DWORD src1_sel:BYTE_0
	v_bfe_u32 v34, v34, 8, 8
	v_lshl_or_b32 v42, v34, 4, v73
	global_load_dwordx4 v[34:37], v35, s[8:9]
	s_nop 0
	global_load_dwordx4 v[42:45], v42, s[8:9]
	v_fmac_f64_e32 v[50:51], s[14:15], v[154:155]
	v_add_f64 v[50:51], v[50:51], v[52:53]
	v_fmac_f64_e32 v[0:1], s[12:13], v[150:151]
	v_add_f64 v[0:1], v[0:1], v[50:51]
	v_fmac_f64_e32 v[240:241], s[18:19], v[166:167]
	v_fmac_f64_e32 v[244:245], s[12:13], v[164:165]
	v_fmac_f64_e32 v[246:247], s[10:11], v[160:161]
	v_fmac_f64_e32 v[238:239], s[20:21], v[156:157]
	v_fmac_f64_e32 v[242:243], s[0:1], v[154:155]
	v_fmac_f64_e32 v[248:249], s[14:15], v[150:151]
	v_fmac_f64_e32 v[228:229], s[14:15], v[166:167]
	v_fmac_f64_e32 v[226:227], s[18:19], v[164:165]
	v_fmac_f64_e32 v[224:225], s[0:1], v[160:161]
	v_fmac_f64_e32 v[222:223], s[12:13], v[156:157]
	v_fmac_f64_e32 v[220:221], s[20:21], v[154:155]
	v_fmac_f64_e32 v[218:219], s[10:11], v[150:151]
	v_fmac_f64_e32 v[216:217], s[12:13], v[166:167]
	v_fmac_f64_e32 v[214:215], s[20:21], v[164:165]
	v_fmac_f64_e32 v[212:213], s[14:15], v[160:161]
	v_fmac_f64_e32 v[210:211], s[0:1], v[156:157]
	v_fmac_f64_e32 v[208:209], s[10:11], v[154:155]
	v_fmac_f64_e32 v[206:207], s[18:19], v[150:151]
	v_fmac_f64_e32 v[192:193], s[10:11], v[166:167]
	v_fmac_f64_e32 v[190:191], s[14:15], v[164:165]
	v_fmac_f64_e32 v[186:187], s[20:21], v[160:161]
	v_fmac_f64_e32 v[178:179], s[18:19], v[156:157]
	v_fmac_f64_e32 v[176:177], s[12:13], v[154:155]
	v_fmac_f64_e32 v[174:175], s[0:1], v[150:151]
	v_fmac_f64_e32 v[168:169], s[0:1], v[166:167]
	v_fmac_f64_e32 v[162:163], s[10:11], v[164:165]
	v_fmac_f64_e32 v[158:159], s[12:13], v[160:161]
	v_fmac_f64_e32 v[152:153], s[14:15], v[156:157]
	v_fmac_f64_e32 v[146:147], s[18:19], v[154:155]
	v_fmac_f64_e32 v[142:143], s[20:21], v[150:151]
	s_waitcnt vmcnt(2)
	v_mul_f64 v[52:53], v[32:33], v[40:41]
	v_fma_f64 v[52:53], v[30:31], v[38:39], -v[52:53]
	v_mul_f64 v[30:31], v[30:31], v[40:41]
	v_fmac_f64_e32 v[30:31], v[32:33], v[38:39]
	v_add_u32_e32 v38, 52, v125
	v_mul_lo_u32 v38, v72, v38
	v_lshlrev_b32_sdwa v39, v71, v38 dst_sel:DWORD dst_unused:UNUSED_PAD src0_sel:DWORD src1_sel:BYTE_0
	v_bfe_u32 v38, v38, 8, 8
	v_lshl_or_b32 v50, v38, 4, v73
	global_load_dwordx4 v[38:41], v39, s[8:9]
	s_nop 0
	global_load_dwordx4 v[58:61], v50, s[8:9]
	v_mul_f64 v[32:33], v[0:1], v[30:31]
	v_mul_f64 v[30:31], v[54:55], v[30:31]
	v_fma_f64 v[32:33], v[54:55], v[52:53], -v[32:33]
	v_fmac_f64_e32 v[30:31], v[0:1], v[52:53]
	v_fma_f64 v[52:53], v[148:149], s[18:19], -v[252:253]
	v_fma_f64 v[50:51], v[134:135], s[12:13], -v[250:251]
	v_add_f64 v[52:53], v[4:5], v[52:53]
	v_fma_f64 v[0:1], v[122:123], s[10:11], -v[68:69]
	v_add_f64 v[50:51], v[50:51], v[52:53]
	v_add_f64 v[0:1], v[0:1], v[50:51]
	v_fma_f64 v[54:55], v[120:121], s[20:21], -v[66:67]
	v_fma_f64 v[52:53], v[118:119], s[0:1], -v[64:65]
	v_add_f64 v[0:1], v[54:55], v[0:1]
	v_add_f64 v[0:1], v[52:53], v[0:1]
	v_add_u32_e32 v52, 39, v125
	v_mul_lo_u32 v52, v72, v52
	v_lshlrev_b32_sdwa v53, v71, v52 dst_sel:DWORD dst_unused:UNUSED_PAD src0_sel:DWORD src1_sel:BYTE_0
	v_bfe_u32 v52, v52, 8, 8
	v_fma_f64 v[50:51], v[116:117], s[14:15], -v[62:63]
	v_lshl_or_b32 v52, v52, 4, v73
	global_load_dwordx4 v[62:65], v53, s[8:9]
	global_load_dwordx4 v[66:69], v52, s[8:9]
	v_add_f64 v[0:1], v[50:51], v[0:1]
	v_add_f64 v[50:51], v[2:3], v[240:241]
	;; [unrolled: 1-line block ×4, first 2 shown]
	s_waitcnt vmcnt(4)
	v_mul_f64 v[52:53], v[36:37], v[44:45]
	v_add_f64 v[50:51], v[238:239], v[50:51]
	v_fma_f64 v[52:53], v[34:35], v[42:43], -v[52:53]
	v_add_f64 v[50:51], v[242:243], v[50:51]
	v_mul_f64 v[34:35], v[34:35], v[44:45]
	v_add_f64 v[50:51], v[248:249], v[50:51]
	v_fmac_f64_e32 v[34:35], v[36:37], v[42:43]
	v_mul_f64 v[36:37], v[50:51], v[34:35]
	v_mul_f64 v[34:35], v[0:1], v[34:35]
	v_fmac_f64_e32 v[34:35], v[50:51], v[52:53]
	v_fma_f64 v[50:51], v[118:119], s[20:21], -v[48:49]
	v_fma_f64 v[48:49], v[148:149], s[14:15], -v[236:237]
	;; [unrolled: 1-line block ×5, first 2 shown]
	v_add_f64 v[48:49], v[4:5], v[48:49]
	v_fma_f64 v[44:45], v[122:123], s[0:1], -v[232:233]
	v_add_f64 v[46:47], v[46:47], v[48:49]
	v_fma_f64 v[42:43], v[120:121], s[12:13], -v[230:231]
	v_add_f64 v[44:45], v[44:45], v[46:47]
	v_add_f64 v[52:53], v[42:43], v[44:45]
	v_add_u32_e32 v42, 26, v125
	v_mul_lo_u32 v42, v72, v42
	v_lshlrev_b32_sdwa v43, v71, v42 dst_sel:DWORD dst_unused:UNUSED_PAD src0_sel:DWORD src1_sel:BYTE_0
	v_bfe_u32 v42, v42, 8, 8
	v_lshl_or_b32 v46, v42, 4, v73
	global_load_dwordx4 v[42:45], v43, s[8:9]
	s_nop 0
	global_load_dwordx4 v[46:49], v46, s[8:9]
	v_add_f64 v[50:51], v[50:51], v[52:53]
	v_add_f64 v[0:1], v[0:1], v[50:51]
	s_waitcnt vmcnt(4)
	v_mul_f64 v[50:51], v[40:41], v[60:61]
	v_fma_f64 v[230:231], v[38:39], v[58:59], -v[50:51]
	v_add_f64 v[50:51], v[2:3], v[228:229]
	v_add_f64 v[50:51], v[226:227], v[50:51]
	;; [unrolled: 1-line block ×3, first 2 shown]
	v_add_u32_e32 v50, 13, v125
	v_mul_lo_u32 v50, v72, v50
	v_lshlrev_b32_sdwa v51, v71, v50 dst_sel:DWORD dst_unused:UNUSED_PAD src0_sel:DWORD src1_sel:BYTE_0
	v_bfe_u32 v50, v50, 8, 8
	v_add_f64 v[222:223], v[222:223], v[224:225]
	v_lshl_or_b32 v54, v50, 4, v73
	v_add_f64 v[220:221], v[220:221], v[222:223]
	v_mul_f64 v[38:39], v[38:39], v[60:61]
	global_load_dwordx4 v[50:53], v51, s[8:9]
	s_nop 0
	global_load_dwordx4 v[54:57], v54, s[8:9]
	v_add_f64 v[218:219], v[218:219], v[220:221]
	v_fmac_f64_e32 v[38:39], v[40:41], v[58:59]
	v_fma_f64 v[60:61], v[120:121], s[0:1], -v[198:199]
	v_fma_f64 v[198:199], v[148:149], s[12:13], -v[204:205]
	v_mul_f64 v[40:41], v[218:219], v[38:39]
	v_fma_f64 v[58:59], v[118:119], s[10:11], -v[196:197]
	v_fma_f64 v[196:197], v[134:135], s[20:21], -v[202:203]
	v_add_f64 v[198:199], v[4:5], v[198:199]
	v_fma_f64 v[40:41], v[0:1], v[230:231], -v[40:41]
	v_mul_f64 v[38:39], v[0:1], v[38:39]
	v_fma_f64 v[0:1], v[116:117], s[18:19], -v[194:195]
	v_fma_f64 v[194:195], v[122:123], s[14:15], -v[200:201]
	v_add_f64 v[196:197], v[196:197], v[198:199]
	v_add_f64 v[194:195], v[194:195], v[196:197]
	;; [unrolled: 1-line block ×5, first 2 shown]
	s_waitcnt vmcnt(4)
	v_mul_f64 v[0:1], v[64:65], v[68:69]
	v_fma_f64 v[60:61], v[62:63], v[66:67], -v[0:1]
	v_add_f64 v[0:1], v[2:3], v[216:217]
	v_add_f64 v[0:1], v[214:215], v[0:1]
	;; [unrolled: 1-line block ×6, first 2 shown]
	v_mul_lo_u32 v0, v72, v125
	v_mul_f64 v[62:63], v[62:63], v[68:69]
	v_lshlrev_b32_sdwa v1, v71, v0 dst_sel:DWORD dst_unused:UNUSED_PAD src0_sel:DWORD src1_sel:BYTE_0
	v_bfe_u32 v0, v0, 8, 8
	v_fmac_f64_e32 v[62:63], v[64:65], v[66:67]
	v_lshl_or_b32 v0, v0, 4, v73
	global_load_dwordx4 v[66:69], v1, s[8:9]
	global_load_dwordx4 v[196:199], v0, s[8:9]
	v_mul_f64 v[64:65], v[194:195], v[62:63]
	v_fma_f64 v[64:65], v[58:59], v[60:61], -v[64:65]
	v_mul_f64 v[62:63], v[58:59], v[62:63]
	v_fma_f64 v[58:59], v[118:119], s[12:13], -v[172:173]
	v_fma_f64 v[172:173], v[148:149], s[10:11], -v[188:189]
	;; [unrolled: 1-line block ×4, first 2 shown]
	v_add_f64 v[172:173], v[4:5], v[172:173]
	v_fma_f64 v[72:73], v[122:123], s[20:21], -v[182:183]
	v_add_f64 v[170:171], v[170:171], v[172:173]
	v_fmac_f64_e32 v[62:63], v[194:195], v[60:61]
	v_fma_f64 v[60:61], v[120:121], s[18:19], -v[180:181]
	v_add_f64 v[72:73], v[72:73], v[170:171]
	v_add_f64 v[60:61], v[60:61], v[72:73]
	;; [unrolled: 1-line block ×5, first 2 shown]
	s_waitcnt vmcnt(4)
	v_mul_f64 v[58:59], v[44:45], v[48:49]
	v_add_f64 v[60:61], v[190:191], v[60:61]
	v_fma_f64 v[58:59], v[42:43], v[46:47], -v[58:59]
	v_add_f64 v[60:61], v[186:187], v[60:61]
	v_mul_f64 v[42:43], v[42:43], v[48:49]
	v_add_f64 v[60:61], v[178:179], v[60:61]
	v_fmac_f64_e32 v[42:43], v[44:45], v[46:47]
	v_accvgpr_read_b32 v47, a1
	v_add_f64 v[60:61], v[176:177], v[60:61]
	v_accvgpr_read_b32 v46, a0
	v_add_f64 v[60:61], v[174:175], v[60:61]
	v_fma_f64 v[46:47], v[116:117], s[20:21], -v[46:47]
	v_fma_f64 v[116:117], v[148:149], s[0:1], -v[144:145]
	v_mul_f64 v[44:45], v[60:61], v[42:43]
	v_mul_f64 v[42:43], v[0:1], v[42:43]
	v_fma_f64 v[72:73], v[134:135], s[10:11], -v[132:133]
	v_add_f64 v[116:117], v[4:5], v[116:117]
	v_fmac_f64_e32 v[42:43], v[60:61], v[58:59]
	v_fma_f64 v[60:61], v[122:123], s[12:13], -v[130:131]
	v_add_f64 v[72:73], v[72:73], v[116:117]
	v_fma_f64 v[44:45], v[0:1], v[58:59], -v[44:45]
	v_fma_f64 v[58:59], v[120:121], s[14:15], -v[128:129]
	v_add_f64 v[60:61], v[60:61], v[72:73]
	v_fma_f64 v[48:49], v[118:119], s[18:19], -v[126:127]
	v_add_f64 v[58:59], v[58:59], v[60:61]
	v_add_f64 v[48:49], v[48:49], v[58:59]
	;; [unrolled: 1-line block ×6, first 2 shown]
	s_waitcnt vmcnt(2)
	v_mul_f64 v[0:1], v[52:53], v[56:57]
	v_add_f64 v[48:49], v[152:153], v[48:49]
	v_fma_f64 v[0:1], v[50:51], v[54:55], -v[0:1]
	v_mul_f64 v[50:51], v[50:51], v[56:57]
	v_add_f64 v[48:49], v[146:147], v[48:49]
	v_fmac_f64_e32 v[50:51], v[52:53], v[54:55]
	v_add_f64 v[52:53], v[142:143], v[48:49]
	v_mul_f64 v[48:49], v[50:51], v[52:53]
	v_add_f64 v[2:3], v[2:3], v[104:105]
	v_fma_f64 v[48:49], v[0:1], v[46:47], -v[48:49]
	v_mul_f64 v[46:47], v[50:51], v[46:47]
	v_add_f64 v[2:3], v[2:3], v[90:91]
	v_fmac_f64_e32 v[46:47], v[0:1], v[52:53]
	v_add_f64 v[0:1], v[4:5], v[140:141]
	v_add_f64 v[2:3], v[2:3], v[88:89]
	;; [unrolled: 1-line block ×20, first 2 shown]
	s_waitcnt vmcnt(0)
	v_mul_f64 v[2:3], v[66:67], v[198:199]
	v_add_f64 v[0:1], v[0:1], v[112:113]
	v_mul_f64 v[4:5], v[68:69], v[198:199]
	v_fmac_f64_e32 v[2:3], v[68:69], v[196:197]
	v_add_f64 v[0:1], v[0:1], v[138:139]
	v_fma_f64 v[50:51], v[66:67], v[196:197], -v[4:5]
	v_mul_f64 v[4:5], v[52:53], v[2:3]
	v_fma_f64 v[4:5], v[0:1], v[50:51], -v[4:5]
	v_mul_f64 v[2:3], v[0:1], v[2:3]
	v_mad_u64_u32 v[0:1], s[0:1], s6, v70, 0
	v_fmac_f64_e32 v[2:3], v[52:53], v[50:51]
	v_mov_b32_e32 v50, v1
	v_mad_u64_u32 v[50:51], s[0:1], s7, v70, v[50:51]
	s_movk_i32 s0, 0x1a5
	v_mov_b32_e32 v1, v50
	v_mul_u32_u24_sdwa v50, v124, s0 dst_sel:DWORD dst_unused:UNUSED_PAD src0_sel:WORD_0 src1_sel:DWORD
	s_movk_i32 s0, 0xa9
	v_mul_lo_u16_sdwa v50, v50, s0 dst_sel:DWORD dst_unused:UNUSED_PAD src0_sel:WORD_1 src1_sel:DWORD
	v_add_u32_e32 v54, v125, v50
	v_mad_u64_u32 v[50:51], s[0:1], s4, v54, 0
	v_mov_b32_e32 v52, v51
	v_mad_u64_u32 v[52:53], s[0:1], s5, v54, v[52:53]
	s_lshl_b64 s[0:1], s[2:3], 4
	s_add_u32 s0, s16, s0
	s_addc_u32 s1, s17, s1
	v_mov_b32_e32 v51, v52
	v_lshl_add_u64 v[0:1], v[0:1], 4, s[0:1]
	v_lshl_add_u64 v[50:51], v[50:51], 4, v[0:1]
	global_store_dwordx4 v[50:51], v[2:5], off
	v_fmac_f64_e32 v[38:39], v[218:219], v[230:231]
	s_nop 0
	v_add_u32_e32 v5, 13, v54
	v_mad_u64_u32 v[2:3], s[0:1], s4, v5, 0
	v_mov_b32_e32 v4, v3
	v_mad_u64_u32 v[4:5], s[0:1], s5, v5, v[4:5]
	v_mov_b32_e32 v3, v4
	v_lshl_add_u64 v[2:3], v[2:3], 4, v[0:1]
	v_add_u32_e32 v5, 26, v54
	global_store_dwordx4 v[2:3], v[46:49], off
	v_mad_u64_u32 v[2:3], s[0:1], s4, v5, 0
	v_mov_b32_e32 v4, v3
	v_mad_u64_u32 v[4:5], s[0:1], s5, v5, v[4:5]
	v_mov_b32_e32 v3, v4
	v_lshl_add_u64 v[2:3], v[2:3], 4, v[0:1]
	v_add_u32_e32 v5, 39, v54
	global_store_dwordx4 v[2:3], v[42:45], off
	;; [unrolled: 7-line block ×11, first 2 shown]
	v_mad_u64_u32 v[2:3], s[0:1], s4, v5, 0
	v_mov_b32_e32 v4, v3
	v_mad_u64_u32 v[4:5], s[0:1], s5, v5, v[4:5]
	v_mov_b32_e32 v3, v4
	v_lshl_add_u64 v[0:1], v[2:3], 4, v[0:1]
	global_store_dwordx4 v[0:1], v[6:9], off
.LBB0_16:
	s_endpgm
	.section	.rodata,"a",@progbits
	.p2align	6, 0x0
	.amdhsa_kernel fft_rtc_back_len169_factors_13_13_wgs_156_tpt_13_dp_ip_CI_sbcc_twdbase8_2step_dirReg
		.amdhsa_group_segment_fixed_size 0
		.amdhsa_private_segment_fixed_size 0
		.amdhsa_kernarg_size 96
		.amdhsa_user_sgpr_count 2
		.amdhsa_user_sgpr_dispatch_ptr 0
		.amdhsa_user_sgpr_queue_ptr 0
		.amdhsa_user_sgpr_kernarg_segment_ptr 1
		.amdhsa_user_sgpr_dispatch_id 0
		.amdhsa_user_sgpr_kernarg_preload_length 0
		.amdhsa_user_sgpr_kernarg_preload_offset 0
		.amdhsa_user_sgpr_private_segment_size 0
		.amdhsa_uses_dynamic_stack 0
		.amdhsa_enable_private_segment 0
		.amdhsa_system_sgpr_workgroup_id_x 1
		.amdhsa_system_sgpr_workgroup_id_y 0
		.amdhsa_system_sgpr_workgroup_id_z 0
		.amdhsa_system_sgpr_workgroup_info 0
		.amdhsa_system_vgpr_workitem_id 0
		.amdhsa_next_free_vgpr 258
		.amdhsa_next_free_sgpr 54
		.amdhsa_accum_offset 256
		.amdhsa_reserve_vcc 1
		.amdhsa_float_round_mode_32 0
		.amdhsa_float_round_mode_16_64 0
		.amdhsa_float_denorm_mode_32 3
		.amdhsa_float_denorm_mode_16_64 3
		.amdhsa_dx10_clamp 1
		.amdhsa_ieee_mode 1
		.amdhsa_fp16_overflow 0
		.amdhsa_tg_split 0
		.amdhsa_exception_fp_ieee_invalid_op 0
		.amdhsa_exception_fp_denorm_src 0
		.amdhsa_exception_fp_ieee_div_zero 0
		.amdhsa_exception_fp_ieee_overflow 0
		.amdhsa_exception_fp_ieee_underflow 0
		.amdhsa_exception_fp_ieee_inexact 0
		.amdhsa_exception_int_div_zero 0
	.end_amdhsa_kernel
	.text
.Lfunc_end0:
	.size	fft_rtc_back_len169_factors_13_13_wgs_156_tpt_13_dp_ip_CI_sbcc_twdbase8_2step_dirReg, .Lfunc_end0-fft_rtc_back_len169_factors_13_13_wgs_156_tpt_13_dp_ip_CI_sbcc_twdbase8_2step_dirReg
                                        ; -- End function
	.section	.AMDGPU.csdata,"",@progbits
; Kernel info:
; codeLenInByte = 11784
; NumSgprs: 60
; NumVgprs: 256
; NumAgprs: 2
; TotalNumVgprs: 258
; ScratchSize: 0
; MemoryBound: 1
; FloatMode: 240
; IeeeMode: 1
; LDSByteSize: 0 bytes/workgroup (compile time only)
; SGPRBlocks: 7
; VGPRBlocks: 32
; NumSGPRsForWavesPerEU: 60
; NumVGPRsForWavesPerEU: 258
; AccumOffset: 256
; Occupancy: 1
; WaveLimiterHint : 1
; COMPUTE_PGM_RSRC2:SCRATCH_EN: 0
; COMPUTE_PGM_RSRC2:USER_SGPR: 2
; COMPUTE_PGM_RSRC2:TRAP_HANDLER: 0
; COMPUTE_PGM_RSRC2:TGID_X_EN: 1
; COMPUTE_PGM_RSRC2:TGID_Y_EN: 0
; COMPUTE_PGM_RSRC2:TGID_Z_EN: 0
; COMPUTE_PGM_RSRC2:TIDIG_COMP_CNT: 0
; COMPUTE_PGM_RSRC3_GFX90A:ACCUM_OFFSET: 63
; COMPUTE_PGM_RSRC3_GFX90A:TG_SPLIT: 0
	.text
	.p2alignl 6, 3212836864
	.fill 256, 4, 3212836864
	.type	__hip_cuid_8826269fa86f3718,@object ; @__hip_cuid_8826269fa86f3718
	.section	.bss,"aw",@nobits
	.globl	__hip_cuid_8826269fa86f3718
__hip_cuid_8826269fa86f3718:
	.byte	0                               ; 0x0
	.size	__hip_cuid_8826269fa86f3718, 1

	.ident	"AMD clang version 19.0.0git (https://github.com/RadeonOpenCompute/llvm-project roc-6.4.0 25133 c7fe45cf4b819c5991fe208aaa96edf142730f1d)"
	.section	".note.GNU-stack","",@progbits
	.addrsig
	.addrsig_sym __hip_cuid_8826269fa86f3718
	.amdgpu_metadata
---
amdhsa.kernels:
  - .agpr_count:     2
    .args:
      - .actual_access:  read_only
        .address_space:  global
        .offset:         0
        .size:           8
        .value_kind:     global_buffer
      - .address_space:  global
        .offset:         8
        .size:           8
        .value_kind:     global_buffer
      - .offset:         16
        .size:           8
        .value_kind:     by_value
      - .actual_access:  read_only
        .address_space:  global
        .offset:         24
        .size:           8
        .value_kind:     global_buffer
      - .actual_access:  read_only
        .address_space:  global
        .offset:         32
        .size:           8
        .value_kind:     global_buffer
      - .offset:         40
        .size:           8
        .value_kind:     by_value
      - .actual_access:  read_only
        .address_space:  global
        .offset:         48
        .size:           8
        .value_kind:     global_buffer
      - .actual_access:  read_only
        .address_space:  global
        .offset:         56
        .size:           8
        .value_kind:     global_buffer
      - .offset:         64
        .size:           4
        .value_kind:     by_value
      - .actual_access:  read_only
        .address_space:  global
        .offset:         72
        .size:           8
        .value_kind:     global_buffer
      - .actual_access:  read_only
        .address_space:  global
        .offset:         80
        .size:           8
        .value_kind:     global_buffer
      - .address_space:  global
        .offset:         88
        .size:           8
        .value_kind:     global_buffer
    .group_segment_fixed_size: 0
    .kernarg_segment_align: 8
    .kernarg_segment_size: 96
    .language:       OpenCL C
    .language_version:
      - 2
      - 0
    .max_flat_workgroup_size: 156
    .name:           fft_rtc_back_len169_factors_13_13_wgs_156_tpt_13_dp_ip_CI_sbcc_twdbase8_2step_dirReg
    .private_segment_fixed_size: 0
    .sgpr_count:     60
    .sgpr_spill_count: 0
    .symbol:         fft_rtc_back_len169_factors_13_13_wgs_156_tpt_13_dp_ip_CI_sbcc_twdbase8_2step_dirReg.kd
    .uniform_work_group_size: 1
    .uses_dynamic_stack: false
    .vgpr_count:     258
    .vgpr_spill_count: 0
    .wavefront_size: 64
amdhsa.target:   amdgcn-amd-amdhsa--gfx950
amdhsa.version:
  - 1
  - 2
...

	.end_amdgpu_metadata
